;; amdgpu-corpus repo=vllm-project/vllm kind=compiled arch=gfx90a opt=O3
	.text
	.amdgcn_target "amdgcn-amd-amdhsa--gfx90a"
	.amdhsa_code_object_version 6
	.section	.text._ZN4vllm32rms_norm_static_fp8_quant_kernelIfN3c1013Float8_e4m3fnELi16EEEvPT0_PKT_iS7_PKffii,"axG",@progbits,_ZN4vllm32rms_norm_static_fp8_quant_kernelIfN3c1013Float8_e4m3fnELi16EEEvPT0_PKT_iS7_PKffii,comdat
	.protected	_ZN4vllm32rms_norm_static_fp8_quant_kernelIfN3c1013Float8_e4m3fnELi16EEEvPT0_PKT_iS7_PKffii ; -- Begin function _ZN4vllm32rms_norm_static_fp8_quant_kernelIfN3c1013Float8_e4m3fnELi16EEEvPT0_PKT_iS7_PKffii
	.globl	_ZN4vllm32rms_norm_static_fp8_quant_kernelIfN3c1013Float8_e4m3fnELi16EEEvPT0_PKT_iS7_PKffii
	.p2align	8
	.type	_ZN4vllm32rms_norm_static_fp8_quant_kernelIfN3c1013Float8_e4m3fnELi16EEEvPT0_PKT_iS7_PKffii,@function
_ZN4vllm32rms_norm_static_fp8_quant_kernelIfN3c1013Float8_e4m3fnELi16EEEvPT0_PKT_iS7_PKffii: ; @_ZN4vllm32rms_norm_static_fp8_quant_kernelIfN3c1013Float8_e4m3fnELi16EEEvPT0_PKT_iS7_PKffii
; %bb.0:
	s_load_dword s2, s[4:5], 0x10
	s_load_dwordx2 s[0:1], s[4:5], 0x8
	s_load_dword s7, s[4:5], 0x30
	s_load_dword s10, s[4:5], 0x44
	s_mov_b32 s9, 0
	s_waitcnt lgkmcnt(0)
	s_mul_i32 s8, s6, s2
	s_lshl_b64 s[2:3], s[8:9], 2
	s_add_u32 s18, s0, s2
	s_addc_u32 s19, s1, s3
	s_and_b32 s20, s10, 0xffff
	s_and_b32 s8, s18, 63
	s_cmp_lg_u64 s[8:9], 0
	s_cselect_b64 s[8:9], -1, 0
	s_and_b32 s10, s7, 15
	s_cmp_lg_u32 s10, 0
	s_cselect_b64 s[10:11], -1, 0
	s_or_b64 s[8:9], s[8:9], s[10:11]
	s_and_b64 vcc, exec, s[8:9]
	s_cbranch_vccz .LBB0_14
; %bb.1:
	s_sub_i32 s8, 0, s18
	s_bfe_u32 s8, s8, 0x40002
	s_min_i32 s8, s8, s7
	v_cmp_gt_i32_e32 vcc, s8, v0
	v_mov_b32_e32 v1, 0
	s_and_saveexec_b64 s[10:11], vcc
	s_cbranch_execz .LBB0_5
; %bb.2:
	s_add_u32 s9, s0, s2
	v_lshlrev_b32_e32 v1, 2, v0
	s_addc_u32 s12, s1, s3
	s_mov_b32 s14, 0
	v_mov_b32_e32 v3, s12
	v_add_co_u32_e32 v2, vcc, s9, v1
	v_addc_co_u32_e32 v3, vcc, 0, v3, vcc
	s_lshl_b32 s9, s20, 2
	s_mov_b64 s[12:13], 0
	v_mov_b32_e32 v1, 0
	v_mov_b32_e32 v4, s14
	;; [unrolled: 1-line block ×3, first 2 shown]
.LBB0_3:                                ; =>This Inner Loop Header: Depth=1
	global_load_dword v6, v[2:3], off
	v_add_co_u32_e32 v2, vcc, s9, v2
	v_add_u32_e32 v5, s20, v5
	v_addc_co_u32_e32 v3, vcc, v3, v4, vcc
	v_cmp_le_i32_e32 vcc, s8, v5
	s_or_b64 s[12:13], vcc, s[12:13]
	s_waitcnt vmcnt(0)
	v_fmac_f32_e32 v1, v6, v6
	s_andn2_b64 exec, exec, s[12:13]
	s_cbranch_execnz .LBB0_3
; %bb.4:
	s_or_b64 exec, exec, s[12:13]
.LBB0_5:
	s_or_b64 exec, exec, s[10:11]
	s_sub_i32 s14, s7, s8
	s_ashr_i32 s10, s14, 31
	s_lshr_b32 s10, s10, 28
	s_add_i32 s10, s14, s10
	s_ashr_i32 s15, s10, 4
	s_ashr_i32 s9, s8, 31
	v_cmp_gt_i32_e32 vcc, s15, v0
	s_and_saveexec_b64 s[10:11], vcc
	s_cbranch_execz .LBB0_9
; %bb.6:
	s_lshl_b64 s[12:13], s[8:9], 2
	s_add_u32 s16, s0, s2
	s_addc_u32 s21, s1, s3
	s_add_u32 s12, s16, s12
	v_lshlrev_b32_e32 v2, 6, v0
	s_addc_u32 s13, s21, s13
	s_mov_b32 s17, 0
	v_mov_b32_e32 v3, s13
	v_add_co_u32_e32 v2, vcc, s12, v2
	v_addc_co_u32_e32 v3, vcc, 0, v3, vcc
	s_lshl_b32 s16, s20, 6
	s_mov_b64 s[12:13], 0
	v_mov_b32_e32 v4, s17
	v_mov_b32_e32 v5, v0
.LBB0_7:                                ; =>This Inner Loop Header: Depth=1
	global_load_dwordx4 v[6:9], v[2:3], off
	global_load_dwordx4 v[10:13], v[2:3], off offset:16
	global_load_dwordx4 v[14:17], v[2:3], off offset:32
	;; [unrolled: 1-line block ×3, first 2 shown]
	v_add_co_u32_e32 v2, vcc, s16, v2
	v_add_u32_e32 v5, s20, v5
	v_addc_co_u32_e32 v3, vcc, v3, v4, vcc
	v_cmp_le_i32_e32 vcc, s15, v5
	s_or_b64 s[12:13], vcc, s[12:13]
	s_waitcnt vmcnt(3)
	v_fmac_f32_e32 v1, v6, v6
	v_fmac_f32_e32 v1, v7, v7
	v_fmac_f32_e32 v1, v8, v8
	v_fmac_f32_e32 v1, v9, v9
	s_waitcnt vmcnt(2)
	v_fmac_f32_e32 v1, v10, v10
	v_fmac_f32_e32 v1, v11, v11
	v_fmac_f32_e32 v1, v12, v12
	v_fmac_f32_e32 v1, v13, v13
	;; [unrolled: 5-line block ×4, first 2 shown]
	s_andn2_b64 exec, exec, s[12:13]
	s_cbranch_execnz .LBB0_7
; %bb.8:
	s_or_b64 exec, exec, s[12:13]
.LBB0_9:
	s_or_b64 exec, exec, s[10:11]
	v_lshl_add_u32 v2, s15, 4, v0
	v_cmp_gt_i32_e32 vcc, s14, v2
	s_and_saveexec_b64 s[10:11], vcc
	s_cbranch_execz .LBB0_13
; %bb.10:
	s_lshl_b64 s[8:9], s[8:9], 2
	s_add_u32 s12, s0, s2
	s_addc_u32 s13, s1, s3
	v_ashrrev_i32_e32 v3, 31, v2
	s_add_u32 s8, s12, s8
	v_lshlrev_b64 v[4:5], 2, v[2:3]
	s_addc_u32 s9, s13, s9
	v_mov_b32_e32 v3, s9
	v_add_co_u32_e32 v4, vcc, s8, v4
	s_mov_b32 s13, 0
	v_addc_co_u32_e32 v5, vcc, v3, v5, vcc
	s_lshl_b32 s12, s20, 2
	s_mov_b64 s[8:9], 0
	v_mov_b32_e32 v3, s13
.LBB0_11:                               ; =>This Inner Loop Header: Depth=1
	global_load_dword v6, v[4:5], off
	v_add_co_u32_e32 v4, vcc, s12, v4
	v_add_u32_e32 v2, s20, v2
	v_addc_co_u32_e32 v5, vcc, v5, v3, vcc
	v_cmp_le_i32_e32 vcc, s14, v2
	s_or_b64 s[8:9], vcc, s[8:9]
	s_waitcnt vmcnt(0)
	v_fmac_f32_e32 v1, v6, v6
	s_andn2_b64 exec, exec, s[8:9]
	s_cbranch_execnz .LBB0_11
; %bb.12:
	s_or_b64 exec, exec, s[8:9]
.LBB0_13:
	s_or_b64 exec, exec, s[10:11]
	s_branch .LBB0_20
.LBB0_14:
                                        ; implicit-def: $vgpr1
	s_cbranch_execz .LBB0_20
; %bb.15:
	s_ashr_i32 s10, s7, 4
	v_cmp_gt_i32_e32 vcc, s10, v0
	v_mov_b32_e32 v1, 0
	s_and_saveexec_b64 s[8:9], vcc
	s_cbranch_execz .LBB0_19
; %bb.16:
	s_add_u32 s0, s0, s2
	v_lshlrev_b32_e32 v1, 6, v0
	s_addc_u32 s1, s1, s3
	s_mov_b32 s11, 0
	v_mov_b32_e32 v3, s1
	v_add_co_u32_e32 v2, vcc, s0, v1
	v_addc_co_u32_e32 v3, vcc, 0, v3, vcc
	s_lshl_b32 s2, s20, 6
	s_mov_b64 s[0:1], 0
	v_mov_b32_e32 v1, 0
	v_mov_b32_e32 v4, s11
	;; [unrolled: 1-line block ×3, first 2 shown]
.LBB0_17:                               ; =>This Inner Loop Header: Depth=1
	global_load_dwordx4 v[6:9], v[2:3], off
	global_load_dwordx4 v[10:13], v[2:3], off offset:16
	global_load_dwordx4 v[14:17], v[2:3], off offset:32
	;; [unrolled: 1-line block ×3, first 2 shown]
	v_add_co_u32_e32 v2, vcc, s2, v2
	v_add_u32_e32 v5, s20, v5
	v_addc_co_u32_e32 v3, vcc, v3, v4, vcc
	v_cmp_le_i32_e32 vcc, s10, v5
	s_or_b64 s[0:1], vcc, s[0:1]
	s_waitcnt vmcnt(3)
	v_fmac_f32_e32 v1, v6, v6
	v_fmac_f32_e32 v1, v7, v7
	v_fmac_f32_e32 v1, v8, v8
	v_fmac_f32_e32 v1, v9, v9
	s_waitcnt vmcnt(2)
	v_fmac_f32_e32 v1, v10, v10
	v_fmac_f32_e32 v1, v11, v11
	v_fmac_f32_e32 v1, v12, v12
	v_fmac_f32_e32 v1, v13, v13
	;; [unrolled: 5-line block ×4, first 2 shown]
	s_andn2_b64 exec, exec, s[0:1]
	s_cbranch_execnz .LBB0_17
; %bb.18:
	s_or_b64 exec, exec, s[0:1]
.LBB0_19:
	s_or_b64 exec, exec, s[8:9]
.LBB0_20:
	v_mbcnt_lo_u32_b32 v2, -1, 0
	v_mbcnt_hi_u32_b32 v2, -1, v2
	v_and_b32_e32 v3, 63, v2
	v_cmp_ne_u32_e32 vcc, 63, v3
	v_addc_co_u32_e32 v4, vcc, 0, v2, vcc
	v_lshlrev_b32_e32 v4, 2, v4
	ds_bpermute_b32 v4, v4, v1
	v_and_b32_e32 v5, 0x3c0, v0
	v_sub_u32_e64 v5, s20, v5 clamp
	v_add_u32_e32 v6, 1, v2
	v_cmp_lt_u32_e32 vcc, v6, v5
	s_waitcnt lgkmcnt(0)
	v_add_f32_e32 v4, v1, v4
	v_cndmask_b32_e32 v1, v1, v4, vcc
	v_cmp_gt_u32_e32 vcc, 62, v3
	v_cndmask_b32_e64 v4, 0, 1, vcc
	v_lshlrev_b32_e32 v4, 1, v4
	v_add_lshl_u32 v4, v4, v2, 2
	ds_bpermute_b32 v4, v4, v1
	v_add_u32_e32 v6, 2, v2
	v_cmp_lt_u32_e32 vcc, v6, v5
	v_add_u32_e32 v6, 4, v2
	s_waitcnt lgkmcnt(0)
	v_add_f32_e32 v4, v1, v4
	v_cndmask_b32_e32 v1, v1, v4, vcc
	v_cmp_gt_u32_e32 vcc, 60, v3
	v_cndmask_b32_e64 v4, 0, 1, vcc
	v_lshlrev_b32_e32 v4, 2, v4
	v_add_lshl_u32 v4, v4, v2, 2
	ds_bpermute_b32 v4, v4, v1
	v_cmp_lt_u32_e32 vcc, v6, v5
	v_add_u32_e32 v6, 8, v2
	s_waitcnt lgkmcnt(0)
	v_add_f32_e32 v4, v1, v4
	v_cndmask_b32_e32 v1, v1, v4, vcc
	v_cmp_gt_u32_e32 vcc, 56, v3
	v_cndmask_b32_e64 v4, 0, 1, vcc
	v_lshlrev_b32_e32 v4, 3, v4
	v_add_lshl_u32 v4, v4, v2, 2
	ds_bpermute_b32 v4, v4, v1
	;; [unrolled: 10-line block ×3, first 2 shown]
	v_cmp_lt_u32_e32 vcc, v6, v5
	s_waitcnt lgkmcnt(0)
	v_add_f32_e32 v4, v1, v4
	v_cndmask_b32_e32 v1, v1, v4, vcc
	v_cmp_gt_u32_e32 vcc, 32, v3
	v_cndmask_b32_e64 v3, 0, 1, vcc
	v_lshlrev_b32_e32 v3, 5, v3
	v_add_lshl_u32 v3, v3, v2, 2
	ds_bpermute_b32 v3, v3, v1
	v_add_u32_e32 v4, 32, v2
	v_cmp_lt_u32_e32 vcc, v4, v5
	s_waitcnt lgkmcnt(0)
	v_add_f32_e32 v3, v1, v3
	v_cndmask_b32_e32 v1, v1, v3, vcc
	v_cmp_eq_u32_e32 vcc, 0, v2
	s_and_saveexec_b64 s[0:1], vcc
	s_cbranch_execz .LBB0_22
; %bb.21:
	v_lshrrev_b32_e32 v3, 4, v0
	v_and_b32_e32 v3, 60, v3
	ds_write_b32 v3, v1
.LBB0_22:
	s_or_b64 exec, exec, s[0:1]
	v_cmp_gt_u32_e32 vcc, 16, v0
	s_waitcnt lgkmcnt(0)
	s_barrier
	s_and_saveexec_b64 s[2:3], vcc
	s_cbranch_execz .LBB0_24
; %bb.23:
	v_lshlrev_b32_e32 v1, 2, v2
	ds_read_b32 v1, v1
	v_and_b32_e32 v3, 15, v2
	v_cmp_ne_u32_e32 vcc, 15, v3
	v_addc_co_u32_e32 v4, vcc, 0, v2, vcc
	v_lshlrev_b32_e32 v4, 2, v4
	s_waitcnt lgkmcnt(0)
	ds_bpermute_b32 v4, v4, v1
	s_add_i32 s0, s20, 63
	s_lshr_b32 s8, s0, 6
	v_add_u32_e32 v5, 1, v3
	v_cmp_gt_u32_e64 s[0:1], 14, v3
	v_cmp_gt_u32_e32 vcc, s8, v5
	v_cndmask_b32_e64 v5, 0, 1, s[0:1]
	s_waitcnt lgkmcnt(0)
	v_add_f32_e32 v4, v1, v4
	v_lshlrev_b32_e32 v5, 1, v5
	v_cndmask_b32_e32 v4, v1, v4, vcc
	v_add_lshl_u32 v5, v5, v2, 2
	ds_bpermute_b32 v5, v5, v4
	v_add_u32_e32 v6, 2, v3
	v_cmp_gt_u32_e64 s[0:1], s8, v6
	v_add_u32_e32 v6, 4, v3
	s_waitcnt lgkmcnt(0)
	v_add_f32_e32 v5, v4, v5
	v_cndmask_b32_e64 v4, v4, v5, s[0:1]
	v_cmp_gt_u32_e64 s[0:1], 12, v3
	v_cndmask_b32_e64 v5, 0, 1, s[0:1]
	v_lshlrev_b32_e32 v5, 2, v5
	v_add_lshl_u32 v5, v5, v2, 2
	ds_bpermute_b32 v5, v5, v4
	v_cmp_gt_u32_e64 s[0:1], s8, v6
	s_waitcnt lgkmcnt(0)
	v_add_f32_e32 v5, v4, v5
	v_cndmask_b32_e64 v4, v4, v5, s[0:1]
	v_cmp_gt_u32_e64 s[0:1], 8, v3
	v_cndmask_b32_e64 v5, 0, 1, s[0:1]
	v_lshlrev_b32_e32 v5, 3, v5
	v_add_lshl_u32 v2, v5, v2, 2
	ds_bpermute_b32 v2, v2, v4
	v_add_u32_e32 v3, 8, v3
	v_cmp_gt_u32_e64 s[0:1], s8, v3
	s_waitcnt lgkmcnt(0)
	v_add_f32_e32 v2, v4, v2
	v_cndmask_b32_e64 v2, v4, v2, s[0:1]
	v_cndmask_b32_e32 v1, v1, v2, vcc
.LBB0_24:
	s_or_b64 exec, exec, s[2:3]
	v_cmp_eq_u32_e32 vcc, 0, v0
	s_and_saveexec_b64 s[0:1], vcc
	s_cbranch_execz .LBB0_26
; %bb.25:
	v_cvt_f32_i32_e32 v2, s7
	s_load_dword s8, s[4:5], 0x28
	v_div_scale_f32 v3, s[2:3], v2, v2, v1
	v_rcp_f32_e32 v4, v3
	v_div_scale_f32 v5, vcc, v1, v2, v1
	s_mov_b32 s2, 0x800000
	v_fma_f32 v6, -v3, v4, 1.0
	v_fmac_f32_e32 v4, v6, v4
	v_mul_f32_e32 v6, v5, v4
	v_fma_f32 v7, -v3, v6, v5
	v_fmac_f32_e32 v6, v7, v4
	v_fma_f32 v3, -v3, v6, v5
	v_div_fmas_f32 v3, v3, v4, v6
	v_div_fixup_f32 v1, v3, v2, v1
	s_waitcnt lgkmcnt(0)
	v_add_f32_e32 v1, s8, v1
	v_mul_f32_e32 v2, 0x4b800000, v1
	v_cmp_gt_f32_e32 vcc, s2, v1
	v_cndmask_b32_e32 v1, v1, v2, vcc
	v_rsq_f32_e32 v1, v1
	v_mul_f32_e32 v2, 0x45800000, v1
	v_cndmask_b32_e32 v1, v1, v2, vcc
	v_mov_b32_e32 v2, 0
	ds_write_b32 v2, v1 offset:64
.LBB0_26:
	s_or_b64 exec, exec, s[0:1]
	s_ashr_i32 s0, s7, 31
	s_lshr_b32 s0, s0, 28
	s_add_i32 s0, s7, s0
	s_ashr_i32 s21, s0, 4
	v_cmp_gt_i32_e32 vcc, s21, v0
	s_waitcnt lgkmcnt(0)
	s_barrier
	s_and_saveexec_b64 s[0:1], vcc
	s_cbranch_execz .LBB0_285
; %bb.27:
	s_load_dwordx4 s[8:11], s[4:5], 0x18
	s_load_dwordx2 s[2:3], s[4:5], 0x0
	v_mov_b32_e32 v35, 0
	ds_read_b32 v1, v35 offset:64
	s_mul_i32 s6, s6, s7
	s_waitcnt lgkmcnt(0)
	s_load_dword s4, s[10:11], 0x0
	s_lshl_b32 s22, s20, 4
	v_lshlrev_b32_e32 v36, 6, v0
	v_lshl_add_u32 v37, v0, 4, s6
	s_lshl_b32 s23, s20, 6
	s_waitcnt lgkmcnt(0)
	v_div_scale_f32 v2, s[0:1], s4, s4, 1.0
	v_rcp_f32_e32 v3, v2
	v_div_scale_f32 v4, vcc, 1.0, s4, 1.0
	s_movk_i32 s24, 0x80
	v_fma_f32 v5, -v2, v3, 1.0
	v_fmac_f32_e32 v3, v5, v3
	v_mul_f32_e32 v5, v4, v3
	v_fma_f32 v6, -v2, v5, v4
	v_fmac_f32_e32 v5, v6, v3
	v_fma_f32 v2, -v2, v5, v4
	v_div_fmas_f32 v2, v2, v3, v5
	v_div_fixup_f32 v40, v2, s4, 1.0
	s_mov_b64 s[4:5], 0
	s_mov_b64 s[6:7], 0x7f800000
	;; [unrolled: 1-line block ×3, first 2 shown]
	s_movk_i32 s25, 0x79
	s_movk_i32 s26, 0x7f
	v_mov_b32_e32 v41, 0x78
	v_mov_b32_e32 v42, 0xffffff89
	s_branch .LBB0_29
.LBB0_28:                               ;   in Loop: Header=BB0_29 Depth=1
	s_or_b64 exec, exec, s[0:1]
	s_add_u32 s8, s8, s23
	s_addc_u32 s9, s9, 0
	v_add_u32_e32 v0, s20, v0
	s_add_u32 s18, s18, s23
	s_addc_u32 s19, s19, 0
	v_cmp_le_i32_e32 vcc, s21, v0
	v_add_u32_e32 v2, 15, v37
	s_or_b64 s[4:5], vcc, s[4:5]
	v_add_u32_e32 v37, s22, v37
	global_store_byte v2, v3, s[2:3]
	s_andn2_b64 exec, exec, s[4:5]
	s_cbranch_execz .LBB0_285
.LBB0_29:                               ; =>This Inner Loop Header: Depth=1
	v_mov_b32_e32 v2, s19
	v_add_co_u32_e32 v38, vcc, s18, v36
	v_addc_co_u32_e32 v39, vcc, 0, v2, vcc
	global_load_dwordx4 v[26:29], v[38:39], off
	v_mov_b32_e32 v2, s9
	v_add_co_u32_e32 v44, vcc, s8, v36
	v_addc_co_u32_e32 v45, vcc, 0, v2, vcc
	global_load_dwordx4 v[30:33], v[44:45], off
	global_load_dwordx4 v[18:21], v[38:39], off offset:16
	global_load_dwordx4 v[22:25], v[44:45], off offset:16
	;; [unrolled: 1-line block ×6, first 2 shown]
	v_mov_b32_e32 v45, v35
	s_waitcnt vmcnt(7)
	v_mul_f32_e32 v26, v26, v1
	s_waitcnt vmcnt(6)
	v_mul_f32_e32 v26, v26, v30
	v_mul_f32_e32 v26, v40, v26
	v_min_f32_e32 v26, 0x43e00000, v26
	v_max_f32_e32 v38, 0xc3e00000, v26
	v_and_b32_sdwa v26, v38, s24 dst_sel:DWORD dst_unused:UNUSED_PAD src0_sel:BYTE_3 src1_sel:DWORD
	v_and_b32_e32 v44, 0x7f800000, v38
	v_and_b32_e32 v34, 0x7fffff, v38
	v_or_b32_e32 v30, 0x7e, v26
	v_cmp_ne_u64_e32 vcc, s[6:7], v[44:45]
	s_and_saveexec_b64 s[0:1], vcc
	s_xor_b64 s[12:13], exec, s[0:1]
	s_cbranch_execz .LBB0_43
; %bb.30:                               ;   in Loop: Header=BB0_29 Depth=1
	v_and_b32_e32 v44, 0x7fffffff, v38
	v_mov_b32_e32 v45, v35
	v_cmp_gt_u64_e32 vcc, s[10:11], v[44:45]
	s_and_saveexec_b64 s[0:1], vcc
	s_xor_b64 s[14:15], exec, s[0:1]
	s_cbranch_execz .LBB0_42
; %bb.31:                               ;   in Loop: Header=BB0_29 Depth=1
	v_cmp_ne_u32_e32 vcc, 0, v38
	v_mov_b32_e32 v30, 0
	s_and_saveexec_b64 s[16:17], vcc
	s_cbranch_execz .LBB0_41
; %bb.32:                               ;   in Loop: Header=BB0_29 Depth=1
	v_bfe_u32 v30, v38, 23, 8
	v_sub_u32_e64 v38, s25, v30 clamp
	v_cmp_eq_u32_e32 vcc, 0, v30
	v_add_u32_e32 v43, 0xffffff88, v30
	v_cndmask_b32_e32 v30, v38, v41, vcc
	v_or_b32_e32 v39, 0x800000, v34
	v_add_u32_e32 v38, 20, v30
	v_cndmask_b32_e32 v34, v39, v34, vcc
	v_lshlrev_b64 v[38:39], v38, -1
	v_not_b32_e32 v39, v39
	v_not_b32_e32 v38, v38
	v_add_u32_e32 v44, 19, v30
	v_and_b32_e32 v39, 0, v39
	v_and_b32_e32 v38, v34, v38
	v_lshlrev_b64 v[44:45], v44, 1
	v_cmp_eq_u64_e64 s[0:1], v[38:39], v[44:45]
	v_lshrrev_b64 v[38:39], v30, v[34:35]
	v_cndmask_b32_e32 v34, v43, v42, vcc
	v_lshrrev_b32_e32 v43, 23, v38
	v_add3_u32 v30, v34, v30, v43
	v_and_b32_e32 v34, 0x100000, v38
	v_cmp_eq_u64_e32 vcc, 0, v[34:35]
	s_and_b64 vcc, vcc, s[0:1]
	v_subbrev_co_u32_e32 v34, vcc, 0, v38, vcc
	v_and_b32_e32 v34, 0xfffff, v34
	v_add_co_u32_e32 v38, vcc, v34, v38
	v_add_u32_e32 v43, -1, v30
	v_addc_co_u32_e32 v39, vcc, 0, v39, vcc
	v_cmp_ne_u32_e32 vcc, 0, v43
                                        ; implicit-def: $vgpr34
	s_and_saveexec_b64 s[0:1], vcc
	s_xor_b64 s[0:1], exec, s[0:1]
; %bb.33:                               ;   in Loop: Header=BB0_29 Depth=1
	v_and_b32_e32 v34, 0x1000000, v38
	v_cmp_eq_u64_e32 vcc, 0, v[34:35]
	v_cndmask_b32_e32 v34, v30, v43, vcc
	v_bfe_u32 v30, v38, 24, 1
	v_lshrrev_b64 v[38:39], v30, v[38:39]
; %bb.34:                               ;   in Loop: Header=BB0_29 Depth=1
	s_andn2_saveexec_b64 s[0:1], s[0:1]
; %bb.35:                               ;   in Loop: Header=BB0_29 Depth=1
	v_bfe_u32 v34, v38, 23, 1
; %bb.36:                               ;   in Loop: Header=BB0_29 Depth=1
	s_or_b64 exec, exec, s[0:1]
	v_lshrrev_b64 v[38:39], 20, v[38:39]
	v_cmp_gt_i32_e32 vcc, 16, v34
	v_cndmask_b32_e32 v39, 0, v39, vcc
	v_cndmask_b32_e32 v38, 7, v38, vcc
	v_cmp_ne_u32_e32 vcc, 0, v34
	v_cmp_ne_u64_e64 s[0:1], 0, v[38:39]
	s_or_b64 s[0:1], vcc, s[0:1]
                                        ; implicit-def: $vgpr30
	s_and_saveexec_b64 s[28:29], s[0:1]
	s_xor_b64 s[0:1], exec, s[28:29]
; %bb.37:                               ;   in Loop: Header=BB0_29 Depth=1
	v_min_i32_e32 v30, 15, v34
	v_lshl_or_b32 v26, v30, 3, v26
	v_and_or_b32 v30, v38, 7, v26
                                        ; implicit-def: $vgpr26
; %bb.38:                               ;   in Loop: Header=BB0_29 Depth=1
	s_andn2_saveexec_b64 s[0:1], s[0:1]
; %bb.39:                               ;   in Loop: Header=BB0_29 Depth=1
	v_mov_b32_e32 v30, v26
; %bb.40:                               ;   in Loop: Header=BB0_29 Depth=1
	s_or_b64 exec, exec, s[0:1]
.LBB0_41:                               ;   in Loop: Header=BB0_29 Depth=1
	s_or_b64 exec, exec, s[16:17]
.LBB0_42:                               ;   in Loop: Header=BB0_29 Depth=1
	s_andn2_saveexec_b64 s[0:1], s[14:15]
	s_or_b64 exec, exec, s[0:1]
                                        ; implicit-def: $vgpr38
.LBB0_43:                               ;   in Loop: Header=BB0_29 Depth=1
	s_andn2_saveexec_b64 s[0:1], s[12:13]
; %bb.44:                               ;   in Loop: Header=BB0_29 Depth=1
	v_or_b32_sdwa v26, v38, s26 dst_sel:DWORD dst_unused:UNUSED_PAD src0_sel:BYTE_3 src1_sel:DWORD
	v_cmp_eq_u64_e32 vcc, 0, v[34:35]
	v_cndmask_b32_e32 v30, v26, v30, vcc
; %bb.45:                               ;   in Loop: Header=BB0_29 Depth=1
	s_or_b64 exec, exec, s[0:1]
	v_mul_f32_e32 v26, v27, v1
	v_mul_f32_e32 v26, v26, v31
	;; [unrolled: 1-line block ×3, first 2 shown]
	v_min_f32_e32 v26, 0x43e00000, v26
	v_max_f32_e32 v26, 0xc3e00000, v26
	global_store_byte v37, v30, s[2:3]
	v_and_b32_sdwa v30, v26, s24 dst_sel:DWORD dst_unused:UNUSED_PAD src0_sel:BYTE_3 src1_sel:DWORD
	v_and_b32_e32 v38, 0x7f800000, v26
	v_mov_b32_e32 v39, v35
	v_and_b32_e32 v34, 0x7fffff, v26
	v_or_b32_e32 v27, 0x7e, v30
	v_cmp_ne_u64_e32 vcc, s[6:7], v[38:39]
	s_and_saveexec_b64 s[0:1], vcc
	s_xor_b64 s[12:13], exec, s[0:1]
	s_cbranch_execz .LBB0_59
; %bb.46:                               ;   in Loop: Header=BB0_29 Depth=1
	v_and_b32_e32 v38, 0x7fffffff, v26
	v_mov_b32_e32 v39, v35
	v_cmp_gt_u64_e32 vcc, s[10:11], v[38:39]
	s_and_saveexec_b64 s[0:1], vcc
	s_xor_b64 s[14:15], exec, s[0:1]
	s_cbranch_execz .LBB0_58
; %bb.47:                               ;   in Loop: Header=BB0_29 Depth=1
	v_cmp_ne_u32_e32 vcc, 0, v26
	v_mov_b32_e32 v27, 0
	s_and_saveexec_b64 s[16:17], vcc
	s_cbranch_execz .LBB0_57
; %bb.48:                               ;   in Loop: Header=BB0_29 Depth=1
	v_bfe_u32 v26, v26, 23, 8
	v_sub_u32_e64 v27, s25, v26 clamp
	v_cmp_eq_u32_e32 vcc, 0, v26
	v_cndmask_b32_e32 v44, v27, v41, vcc
	v_add_u32_e32 v43, 0xffffff88, v26
	v_add_u32_e32 v26, 20, v44
	v_or_b32_e32 v31, 0x800000, v34
	v_lshlrev_b64 v[26:27], v26, -1
	v_cndmask_b32_e32 v34, v31, v34, vcc
	v_not_b32_e32 v27, v27
	v_not_b32_e32 v26, v26
	v_add_u32_e32 v31, 19, v44
	v_and_b32_e32 v27, 0, v27
	v_and_b32_e32 v26, v34, v26
	v_lshlrev_b64 v[38:39], v31, 1
	v_cmp_eq_u64_e64 s[0:1], v[26:27], v[38:39]
	v_lshrrev_b64 v[26:27], v44, v[34:35]
	v_cndmask_b32_e32 v31, v43, v42, vcc
	v_lshrrev_b32_e32 v34, 23, v26
	v_add3_u32 v38, v31, v44, v34
	v_and_b32_e32 v34, 0x100000, v26
	v_cmp_eq_u64_e32 vcc, 0, v[34:35]
	s_and_b64 vcc, vcc, s[0:1]
	v_subbrev_co_u32_e32 v31, vcc, 0, v26, vcc
	v_and_b32_e32 v31, 0xfffff, v31
	v_add_co_u32_e32 v26, vcc, v31, v26
	v_add_u32_e32 v39, -1, v38
	v_addc_co_u32_e32 v27, vcc, 0, v27, vcc
	v_cmp_ne_u32_e32 vcc, 0, v39
                                        ; implicit-def: $vgpr31
	s_and_saveexec_b64 s[0:1], vcc
	s_xor_b64 s[0:1], exec, s[0:1]
; %bb.49:                               ;   in Loop: Header=BB0_29 Depth=1
	v_and_b32_e32 v34, 0x1000000, v26
	v_cmp_eq_u64_e32 vcc, 0, v[34:35]
	v_bfe_u32 v34, v26, 24, 1
	v_cndmask_b32_e32 v31, v38, v39, vcc
	v_lshrrev_b64 v[26:27], v34, v[26:27]
; %bb.50:                               ;   in Loop: Header=BB0_29 Depth=1
	s_andn2_saveexec_b64 s[0:1], s[0:1]
; %bb.51:                               ;   in Loop: Header=BB0_29 Depth=1
	v_bfe_u32 v31, v26, 23, 1
; %bb.52:                               ;   in Loop: Header=BB0_29 Depth=1
	s_or_b64 exec, exec, s[0:1]
	v_lshrrev_b64 v[26:27], 20, v[26:27]
	v_cmp_gt_i32_e32 vcc, 16, v31
	v_cndmask_b32_e32 v27, 0, v27, vcc
	v_cndmask_b32_e32 v26, 7, v26, vcc
	v_cmp_ne_u32_e32 vcc, 0, v31
	v_cmp_ne_u64_e64 s[0:1], 0, v[26:27]
	s_or_b64 s[0:1], vcc, s[0:1]
                                        ; implicit-def: $vgpr27
	s_and_saveexec_b64 s[28:29], s[0:1]
	s_xor_b64 s[0:1], exec, s[28:29]
; %bb.53:                               ;   in Loop: Header=BB0_29 Depth=1
	v_min_i32_e32 v27, 15, v31
	v_lshl_or_b32 v27, v27, 3, v30
	v_and_or_b32 v27, v26, 7, v27
                                        ; implicit-def: $vgpr30
; %bb.54:                               ;   in Loop: Header=BB0_29 Depth=1
	s_andn2_saveexec_b64 s[0:1], s[0:1]
; %bb.55:                               ;   in Loop: Header=BB0_29 Depth=1
	v_mov_b32_e32 v27, v30
; %bb.56:                               ;   in Loop: Header=BB0_29 Depth=1
	s_or_b64 exec, exec, s[0:1]
.LBB0_57:                               ;   in Loop: Header=BB0_29 Depth=1
	s_or_b64 exec, exec, s[16:17]
.LBB0_58:                               ;   in Loop: Header=BB0_29 Depth=1
	s_andn2_saveexec_b64 s[0:1], s[14:15]
	s_or_b64 exec, exec, s[0:1]
                                        ; implicit-def: $vgpr26
.LBB0_59:                               ;   in Loop: Header=BB0_29 Depth=1
	s_andn2_saveexec_b64 s[0:1], s[12:13]
; %bb.60:                               ;   in Loop: Header=BB0_29 Depth=1
	v_or_b32_sdwa v26, v26, s26 dst_sel:DWORD dst_unused:UNUSED_PAD src0_sel:BYTE_3 src1_sel:DWORD
	v_cmp_eq_u64_e32 vcc, 0, v[34:35]
	v_cndmask_b32_e32 v27, v26, v27, vcc
; %bb.61:                               ;   in Loop: Header=BB0_29 Depth=1
	s_or_b64 exec, exec, s[0:1]
	v_add_u32_e32 v26, 1, v37
	global_store_byte v26, v27, s[2:3]
	v_mul_f32_e32 v26, v28, v1
	v_mul_f32_e32 v26, v26, v32
	;; [unrolled: 1-line block ×3, first 2 shown]
	v_min_f32_e32 v26, 0x43e00000, v26
	v_max_f32_e32 v26, 0xc3e00000, v26
	v_and_b32_sdwa v28, v26, s24 dst_sel:DWORD dst_unused:UNUSED_PAD src0_sel:BYTE_3 src1_sel:DWORD
	v_and_b32_e32 v30, 0x7f800000, v26
	v_mov_b32_e32 v31, v35
	v_and_b32_e32 v34, 0x7fffff, v26
	v_or_b32_e32 v27, 0x7e, v28
	v_cmp_ne_u64_e32 vcc, s[6:7], v[30:31]
	s_and_saveexec_b64 s[0:1], vcc
	s_xor_b64 s[12:13], exec, s[0:1]
	s_cbranch_execz .LBB0_75
; %bb.62:                               ;   in Loop: Header=BB0_29 Depth=1
	v_and_b32_e32 v30, 0x7fffffff, v26
	v_mov_b32_e32 v31, v35
	v_cmp_gt_u64_e32 vcc, s[10:11], v[30:31]
	s_and_saveexec_b64 s[0:1], vcc
	s_xor_b64 s[14:15], exec, s[0:1]
	s_cbranch_execz .LBB0_74
; %bb.63:                               ;   in Loop: Header=BB0_29 Depth=1
	v_cmp_ne_u32_e32 vcc, 0, v26
	v_mov_b32_e32 v27, 0
	s_and_saveexec_b64 s[16:17], vcc
	s_cbranch_execz .LBB0_73
; %bb.64:                               ;   in Loop: Header=BB0_29 Depth=1
	v_bfe_u32 v26, v26, 23, 8
	v_sub_u32_e64 v27, s25, v26 clamp
	v_cmp_eq_u32_e32 vcc, 0, v26
	v_cndmask_b32_e32 v38, v27, v41, vcc
	v_add_u32_e32 v32, 0xffffff88, v26
	v_add_u32_e32 v26, 20, v38
	v_or_b32_e32 v30, 0x800000, v34
	v_lshlrev_b64 v[26:27], v26, -1
	v_cndmask_b32_e32 v34, v30, v34, vcc
	v_not_b32_e32 v27, v27
	v_not_b32_e32 v26, v26
	v_add_u32_e32 v30, 19, v38
	v_and_b32_e32 v27, 0, v27
	v_and_b32_e32 v26, v34, v26
	v_lshlrev_b64 v[30:31], v30, 1
	v_cmp_eq_u64_e64 s[0:1], v[26:27], v[30:31]
	v_lshrrev_b64 v[26:27], v38, v[34:35]
	v_and_b32_e32 v34, 0x100000, v26
	v_cndmask_b32_e32 v30, v32, v42, vcc
	v_cmp_eq_u64_e32 vcc, 0, v[34:35]
	v_lshrrev_b32_e32 v31, 23, v26
	s_and_b64 vcc, vcc, s[0:1]
	v_add3_u32 v31, v30, v38, v31
	v_subbrev_co_u32_e32 v30, vcc, 0, v26, vcc
	v_and_b32_e32 v30, 0xfffff, v30
	v_add_co_u32_e32 v26, vcc, v30, v26
	v_add_u32_e32 v32, -1, v31
	v_addc_co_u32_e32 v27, vcc, 0, v27, vcc
	v_cmp_ne_u32_e32 vcc, 0, v32
                                        ; implicit-def: $vgpr30
	s_and_saveexec_b64 s[0:1], vcc
	s_xor_b64 s[0:1], exec, s[0:1]
; %bb.65:                               ;   in Loop: Header=BB0_29 Depth=1
	v_and_b32_e32 v34, 0x1000000, v26
	v_cmp_eq_u64_e32 vcc, 0, v[34:35]
	v_cndmask_b32_e32 v30, v31, v32, vcc
	v_bfe_u32 v31, v26, 24, 1
	v_lshrrev_b64 v[26:27], v31, v[26:27]
; %bb.66:                               ;   in Loop: Header=BB0_29 Depth=1
	s_andn2_saveexec_b64 s[0:1], s[0:1]
; %bb.67:                               ;   in Loop: Header=BB0_29 Depth=1
	v_bfe_u32 v30, v26, 23, 1
; %bb.68:                               ;   in Loop: Header=BB0_29 Depth=1
	s_or_b64 exec, exec, s[0:1]
	v_lshrrev_b64 v[26:27], 20, v[26:27]
	v_cmp_gt_i32_e32 vcc, 16, v30
	v_cndmask_b32_e32 v27, 0, v27, vcc
	v_cndmask_b32_e32 v26, 7, v26, vcc
	v_cmp_ne_u32_e32 vcc, 0, v30
	v_cmp_ne_u64_e64 s[0:1], 0, v[26:27]
	s_or_b64 s[0:1], vcc, s[0:1]
                                        ; implicit-def: $vgpr27
	s_and_saveexec_b64 s[28:29], s[0:1]
	s_xor_b64 s[0:1], exec, s[28:29]
; %bb.69:                               ;   in Loop: Header=BB0_29 Depth=1
	v_min_i32_e32 v27, 15, v30
	v_lshl_or_b32 v27, v27, 3, v28
	v_and_or_b32 v27, v26, 7, v27
                                        ; implicit-def: $vgpr28
; %bb.70:                               ;   in Loop: Header=BB0_29 Depth=1
	s_andn2_saveexec_b64 s[0:1], s[0:1]
; %bb.71:                               ;   in Loop: Header=BB0_29 Depth=1
	v_mov_b32_e32 v27, v28
; %bb.72:                               ;   in Loop: Header=BB0_29 Depth=1
	s_or_b64 exec, exec, s[0:1]
.LBB0_73:                               ;   in Loop: Header=BB0_29 Depth=1
	s_or_b64 exec, exec, s[16:17]
.LBB0_74:                               ;   in Loop: Header=BB0_29 Depth=1
	s_andn2_saveexec_b64 s[0:1], s[14:15]
	s_or_b64 exec, exec, s[0:1]
                                        ; implicit-def: $vgpr26
.LBB0_75:                               ;   in Loop: Header=BB0_29 Depth=1
	s_andn2_saveexec_b64 s[0:1], s[12:13]
; %bb.76:                               ;   in Loop: Header=BB0_29 Depth=1
	v_or_b32_sdwa v26, v26, s26 dst_sel:DWORD dst_unused:UNUSED_PAD src0_sel:BYTE_3 src1_sel:DWORD
	v_cmp_eq_u64_e32 vcc, 0, v[34:35]
	v_cndmask_b32_e32 v27, v26, v27, vcc
; %bb.77:                               ;   in Loop: Header=BB0_29 Depth=1
	s_or_b64 exec, exec, s[0:1]
	v_add_u32_e32 v26, 2, v37
	global_store_byte v26, v27, s[2:3]
	v_mul_f32_e32 v26, v29, v1
	v_mul_f32_e32 v26, v26, v33
	;; [unrolled: 1-line block ×3, first 2 shown]
	v_min_f32_e32 v26, 0x43e00000, v26
	v_max_f32_e32 v26, 0xc3e00000, v26
	v_and_b32_sdwa v28, v26, s24 dst_sel:DWORD dst_unused:UNUSED_PAD src0_sel:BYTE_3 src1_sel:DWORD
	v_and_b32_e32 v30, 0x7f800000, v26
	v_mov_b32_e32 v31, v35
	v_and_b32_e32 v34, 0x7fffff, v26
	v_or_b32_e32 v27, 0x7e, v28
	v_cmp_ne_u64_e32 vcc, s[6:7], v[30:31]
	s_and_saveexec_b64 s[0:1], vcc
	s_xor_b64 s[12:13], exec, s[0:1]
	s_cbranch_execz .LBB0_91
; %bb.78:                               ;   in Loop: Header=BB0_29 Depth=1
	v_and_b32_e32 v30, 0x7fffffff, v26
	v_mov_b32_e32 v31, v35
	v_cmp_gt_u64_e32 vcc, s[10:11], v[30:31]
	s_and_saveexec_b64 s[0:1], vcc
	s_xor_b64 s[14:15], exec, s[0:1]
	s_cbranch_execz .LBB0_90
; %bb.79:                               ;   in Loop: Header=BB0_29 Depth=1
	v_cmp_ne_u32_e32 vcc, 0, v26
	v_mov_b32_e32 v27, 0
	s_and_saveexec_b64 s[16:17], vcc
	s_cbranch_execz .LBB0_89
; %bb.80:                               ;   in Loop: Header=BB0_29 Depth=1
	v_bfe_u32 v26, v26, 23, 8
	v_sub_u32_e64 v27, s25, v26 clamp
	v_cmp_eq_u32_e32 vcc, 0, v26
	v_cndmask_b32_e32 v33, v27, v41, vcc
	v_add_u32_e32 v32, 0xffffff88, v26
	v_add_u32_e32 v26, 20, v33
	v_or_b32_e32 v29, 0x800000, v34
	v_lshlrev_b64 v[26:27], v26, -1
	v_cndmask_b32_e32 v34, v29, v34, vcc
	v_not_b32_e32 v27, v27
	v_not_b32_e32 v26, v26
	v_add_u32_e32 v29, 19, v33
	v_and_b32_e32 v27, 0, v27
	v_and_b32_e32 v26, v34, v26
	v_lshlrev_b64 v[30:31], v29, 1
	v_cmp_eq_u64_e64 s[0:1], v[26:27], v[30:31]
	v_lshrrev_b64 v[26:27], v33, v[34:35]
	v_and_b32_e32 v34, 0x100000, v26
	v_cndmask_b32_e32 v29, v32, v42, vcc
	v_cmp_eq_u64_e32 vcc, 0, v[34:35]
	v_lshrrev_b32_e32 v30, 23, v26
	s_and_b64 vcc, vcc, s[0:1]
	v_add3_u32 v30, v29, v33, v30
	v_subbrev_co_u32_e32 v29, vcc, 0, v26, vcc
	v_and_b32_e32 v29, 0xfffff, v29
	v_add_co_u32_e32 v26, vcc, v29, v26
	v_add_u32_e32 v31, -1, v30
	v_addc_co_u32_e32 v27, vcc, 0, v27, vcc
	v_cmp_ne_u32_e32 vcc, 0, v31
                                        ; implicit-def: $vgpr29
	s_and_saveexec_b64 s[0:1], vcc
	s_xor_b64 s[0:1], exec, s[0:1]
; %bb.81:                               ;   in Loop: Header=BB0_29 Depth=1
	v_and_b32_e32 v34, 0x1000000, v26
	v_cmp_eq_u64_e32 vcc, 0, v[34:35]
	v_cndmask_b32_e32 v29, v30, v31, vcc
	v_bfe_u32 v30, v26, 24, 1
	v_lshrrev_b64 v[26:27], v30, v[26:27]
; %bb.82:                               ;   in Loop: Header=BB0_29 Depth=1
	s_andn2_saveexec_b64 s[0:1], s[0:1]
; %bb.83:                               ;   in Loop: Header=BB0_29 Depth=1
	v_bfe_u32 v29, v26, 23, 1
; %bb.84:                               ;   in Loop: Header=BB0_29 Depth=1
	s_or_b64 exec, exec, s[0:1]
	v_lshrrev_b64 v[26:27], 20, v[26:27]
	v_cmp_gt_i32_e32 vcc, 16, v29
	v_cndmask_b32_e32 v27, 0, v27, vcc
	v_cndmask_b32_e32 v26, 7, v26, vcc
	v_cmp_ne_u32_e32 vcc, 0, v29
	v_cmp_ne_u64_e64 s[0:1], 0, v[26:27]
	s_or_b64 s[0:1], vcc, s[0:1]
                                        ; implicit-def: $vgpr27
	s_and_saveexec_b64 s[28:29], s[0:1]
	s_xor_b64 s[0:1], exec, s[28:29]
; %bb.85:                               ;   in Loop: Header=BB0_29 Depth=1
	v_min_i32_e32 v27, 15, v29
	v_lshl_or_b32 v27, v27, 3, v28
	v_and_or_b32 v27, v26, 7, v27
                                        ; implicit-def: $vgpr28
; %bb.86:                               ;   in Loop: Header=BB0_29 Depth=1
	s_andn2_saveexec_b64 s[0:1], s[0:1]
; %bb.87:                               ;   in Loop: Header=BB0_29 Depth=1
	v_mov_b32_e32 v27, v28
; %bb.88:                               ;   in Loop: Header=BB0_29 Depth=1
	s_or_b64 exec, exec, s[0:1]
.LBB0_89:                               ;   in Loop: Header=BB0_29 Depth=1
	s_or_b64 exec, exec, s[16:17]
.LBB0_90:                               ;   in Loop: Header=BB0_29 Depth=1
	s_andn2_saveexec_b64 s[0:1], s[14:15]
	s_or_b64 exec, exec, s[0:1]
                                        ; implicit-def: $vgpr26
.LBB0_91:                               ;   in Loop: Header=BB0_29 Depth=1
	s_andn2_saveexec_b64 s[0:1], s[12:13]
; %bb.92:                               ;   in Loop: Header=BB0_29 Depth=1
	v_or_b32_sdwa v26, v26, s26 dst_sel:DWORD dst_unused:UNUSED_PAD src0_sel:BYTE_3 src1_sel:DWORD
	v_cmp_eq_u64_e32 vcc, 0, v[34:35]
	v_cndmask_b32_e32 v27, v26, v27, vcc
; %bb.93:                               ;   in Loop: Header=BB0_29 Depth=1
	s_or_b64 exec, exec, s[0:1]
	s_waitcnt vmcnt(8)
	v_mul_f32_e32 v18, v18, v1
	s_waitcnt vmcnt(7)
	v_mul_f32_e32 v18, v18, v22
	v_mul_f32_e32 v18, v40, v18
	v_add_u32_e32 v26, 3, v37
	v_min_f32_e32 v18, 0x43e00000, v18
	global_store_byte v26, v27, s[2:3]
	v_max_f32_e32 v26, 0xc3e00000, v18
	v_and_b32_sdwa v18, v26, s24 dst_sel:DWORD dst_unused:UNUSED_PAD src0_sel:BYTE_3 src1_sel:DWORD
	v_and_b32_e32 v28, 0x7f800000, v26
	v_mov_b32_e32 v29, v35
	v_and_b32_e32 v34, 0x7fffff, v26
	v_or_b32_e32 v22, 0x7e, v18
	v_cmp_ne_u64_e32 vcc, s[6:7], v[28:29]
	s_and_saveexec_b64 s[0:1], vcc
	s_xor_b64 s[12:13], exec, s[0:1]
	s_cbranch_execz .LBB0_107
; %bb.94:                               ;   in Loop: Header=BB0_29 Depth=1
	v_and_b32_e32 v28, 0x7fffffff, v26
	v_mov_b32_e32 v29, v35
	v_cmp_gt_u64_e32 vcc, s[10:11], v[28:29]
	s_and_saveexec_b64 s[0:1], vcc
	s_xor_b64 s[14:15], exec, s[0:1]
	s_cbranch_execz .LBB0_106
; %bb.95:                               ;   in Loop: Header=BB0_29 Depth=1
	v_cmp_ne_u32_e32 vcc, 0, v26
	v_mov_b32_e32 v22, 0
	s_and_saveexec_b64 s[16:17], vcc
	s_cbranch_execz .LBB0_105
; %bb.96:                               ;   in Loop: Header=BB0_29 Depth=1
	v_bfe_u32 v22, v26, 23, 8
	v_sub_u32_e64 v26, s25, v22 clamp
	v_cmp_eq_u32_e32 vcc, 0, v22
	v_add_u32_e32 v30, 0xffffff88, v22
	v_cndmask_b32_e32 v22, v26, v41, vcc
	v_or_b32_e32 v27, 0x800000, v34
	v_add_u32_e32 v26, 20, v22
	v_cndmask_b32_e32 v34, v27, v34, vcc
	v_lshlrev_b64 v[26:27], v26, -1
	v_not_b32_e32 v27, v27
	v_not_b32_e32 v26, v26
	v_add_u32_e32 v28, 19, v22
	v_and_b32_e32 v27, 0, v27
	v_and_b32_e32 v26, v34, v26
	v_lshlrev_b64 v[28:29], v28, 1
	v_cmp_eq_u64_e64 s[0:1], v[26:27], v[28:29]
	v_lshrrev_b64 v[26:27], v22, v[34:35]
	v_and_b32_e32 v34, 0x100000, v26
	v_cndmask_b32_e32 v28, v30, v42, vcc
	v_cmp_eq_u64_e32 vcc, 0, v[34:35]
	v_lshrrev_b32_e32 v29, 23, v26
	s_and_b64 vcc, vcc, s[0:1]
	v_add3_u32 v22, v28, v22, v29
	v_subbrev_co_u32_e32 v28, vcc, 0, v26, vcc
	v_and_b32_e32 v28, 0xfffff, v28
	v_add_co_u32_e32 v26, vcc, v28, v26
	v_add_u32_e32 v29, -1, v22
	v_addc_co_u32_e32 v27, vcc, 0, v27, vcc
	v_cmp_ne_u32_e32 vcc, 0, v29
                                        ; implicit-def: $vgpr28
	s_and_saveexec_b64 s[0:1], vcc
	s_xor_b64 s[0:1], exec, s[0:1]
; %bb.97:                               ;   in Loop: Header=BB0_29 Depth=1
	v_and_b32_e32 v34, 0x1000000, v26
	v_cmp_eq_u64_e32 vcc, 0, v[34:35]
	v_cndmask_b32_e32 v28, v22, v29, vcc
	v_bfe_u32 v22, v26, 24, 1
	v_lshrrev_b64 v[26:27], v22, v[26:27]
; %bb.98:                               ;   in Loop: Header=BB0_29 Depth=1
	s_andn2_saveexec_b64 s[0:1], s[0:1]
; %bb.99:                               ;   in Loop: Header=BB0_29 Depth=1
	v_bfe_u32 v28, v26, 23, 1
; %bb.100:                              ;   in Loop: Header=BB0_29 Depth=1
	s_or_b64 exec, exec, s[0:1]
	v_lshrrev_b64 v[26:27], 20, v[26:27]
	v_cmp_gt_i32_e32 vcc, 16, v28
	v_cndmask_b32_e32 v27, 0, v27, vcc
	v_cndmask_b32_e32 v26, 7, v26, vcc
	v_cmp_ne_u32_e32 vcc, 0, v28
	v_cmp_ne_u64_e64 s[0:1], 0, v[26:27]
	s_or_b64 s[0:1], vcc, s[0:1]
                                        ; implicit-def: $vgpr22
	s_and_saveexec_b64 s[28:29], s[0:1]
	s_xor_b64 s[0:1], exec, s[28:29]
; %bb.101:                              ;   in Loop: Header=BB0_29 Depth=1
	v_min_i32_e32 v22, 15, v28
	v_lshl_or_b32 v18, v22, 3, v18
	v_and_or_b32 v22, v26, 7, v18
                                        ; implicit-def: $vgpr18
; %bb.102:                              ;   in Loop: Header=BB0_29 Depth=1
	s_andn2_saveexec_b64 s[0:1], s[0:1]
; %bb.103:                              ;   in Loop: Header=BB0_29 Depth=1
	v_mov_b32_e32 v22, v18
; %bb.104:                              ;   in Loop: Header=BB0_29 Depth=1
	s_or_b64 exec, exec, s[0:1]
.LBB0_105:                              ;   in Loop: Header=BB0_29 Depth=1
	s_or_b64 exec, exec, s[16:17]
.LBB0_106:                              ;   in Loop: Header=BB0_29 Depth=1
	s_andn2_saveexec_b64 s[0:1], s[14:15]
	s_or_b64 exec, exec, s[0:1]
                                        ; implicit-def: $vgpr26
.LBB0_107:                              ;   in Loop: Header=BB0_29 Depth=1
	s_andn2_saveexec_b64 s[0:1], s[12:13]
; %bb.108:                              ;   in Loop: Header=BB0_29 Depth=1
	v_or_b32_sdwa v18, v26, s26 dst_sel:DWORD dst_unused:UNUSED_PAD src0_sel:BYTE_3 src1_sel:DWORD
	v_cmp_eq_u64_e32 vcc, 0, v[34:35]
	v_cndmask_b32_e32 v22, v18, v22, vcc
; %bb.109:                              ;   in Loop: Header=BB0_29 Depth=1
	s_or_b64 exec, exec, s[0:1]
	v_add_u32_e32 v18, 4, v37
	global_store_byte v18, v22, s[2:3]
	v_mul_f32_e32 v18, v19, v1
	v_mul_f32_e32 v18, v18, v23
	;; [unrolled: 1-line block ×3, first 2 shown]
	v_min_f32_e32 v18, 0x43e00000, v18
	v_max_f32_e32 v18, 0xc3e00000, v18
	v_and_b32_sdwa v22, v18, s24 dst_sel:DWORD dst_unused:UNUSED_PAD src0_sel:BYTE_3 src1_sel:DWORD
	v_and_b32_e32 v26, 0x7f800000, v18
	v_mov_b32_e32 v27, v35
	v_and_b32_e32 v34, 0x7fffff, v18
	v_or_b32_e32 v19, 0x7e, v22
	v_cmp_ne_u64_e32 vcc, s[6:7], v[26:27]
	s_and_saveexec_b64 s[0:1], vcc
	s_xor_b64 s[12:13], exec, s[0:1]
	s_cbranch_execz .LBB0_123
; %bb.110:                              ;   in Loop: Header=BB0_29 Depth=1
	v_and_b32_e32 v26, 0x7fffffff, v18
	v_mov_b32_e32 v27, v35
	v_cmp_gt_u64_e32 vcc, s[10:11], v[26:27]
	s_and_saveexec_b64 s[0:1], vcc
	s_xor_b64 s[14:15], exec, s[0:1]
	s_cbranch_execz .LBB0_122
; %bb.111:                              ;   in Loop: Header=BB0_29 Depth=1
	v_cmp_ne_u32_e32 vcc, 0, v18
	v_mov_b32_e32 v19, 0
	s_and_saveexec_b64 s[16:17], vcc
	s_cbranch_execz .LBB0_121
; %bb.112:                              ;   in Loop: Header=BB0_29 Depth=1
	v_bfe_u32 v18, v18, 23, 8
	v_sub_u32_e64 v19, s25, v18 clamp
	v_cmp_eq_u32_e32 vcc, 0, v18
	v_cndmask_b32_e32 v29, v19, v41, vcc
	v_add_u32_e32 v28, 0xffffff88, v18
	v_add_u32_e32 v18, 20, v29
	v_or_b32_e32 v23, 0x800000, v34
	v_lshlrev_b64 v[18:19], v18, -1
	v_cndmask_b32_e32 v34, v23, v34, vcc
	v_not_b32_e32 v19, v19
	v_not_b32_e32 v18, v18
	v_add_u32_e32 v23, 19, v29
	v_and_b32_e32 v19, 0, v19
	v_and_b32_e32 v18, v34, v18
	v_lshlrev_b64 v[26:27], v23, 1
	v_cmp_eq_u64_e64 s[0:1], v[18:19], v[26:27]
	v_lshrrev_b64 v[18:19], v29, v[34:35]
	v_and_b32_e32 v34, 0x100000, v18
	v_cndmask_b32_e32 v23, v28, v42, vcc
	v_cmp_eq_u64_e32 vcc, 0, v[34:35]
	v_lshrrev_b32_e32 v26, 23, v18
	s_and_b64 vcc, vcc, s[0:1]
	v_add3_u32 v26, v23, v29, v26
	v_subbrev_co_u32_e32 v23, vcc, 0, v18, vcc
	v_and_b32_e32 v23, 0xfffff, v23
	v_add_co_u32_e32 v18, vcc, v23, v18
	v_add_u32_e32 v27, -1, v26
	v_addc_co_u32_e32 v19, vcc, 0, v19, vcc
	v_cmp_ne_u32_e32 vcc, 0, v27
                                        ; implicit-def: $vgpr23
	s_and_saveexec_b64 s[0:1], vcc
	s_xor_b64 s[0:1], exec, s[0:1]
; %bb.113:                              ;   in Loop: Header=BB0_29 Depth=1
	v_and_b32_e32 v34, 0x1000000, v18
	v_cmp_eq_u64_e32 vcc, 0, v[34:35]
	v_cndmask_b32_e32 v23, v26, v27, vcc
	v_bfe_u32 v26, v18, 24, 1
	v_lshrrev_b64 v[18:19], v26, v[18:19]
; %bb.114:                              ;   in Loop: Header=BB0_29 Depth=1
	s_andn2_saveexec_b64 s[0:1], s[0:1]
; %bb.115:                              ;   in Loop: Header=BB0_29 Depth=1
	v_bfe_u32 v23, v18, 23, 1
; %bb.116:                              ;   in Loop: Header=BB0_29 Depth=1
	s_or_b64 exec, exec, s[0:1]
	v_lshrrev_b64 v[18:19], 20, v[18:19]
	v_cmp_gt_i32_e32 vcc, 16, v23
	v_cndmask_b32_e32 v19, 0, v19, vcc
	v_cndmask_b32_e32 v18, 7, v18, vcc
	v_cmp_ne_u32_e32 vcc, 0, v23
	v_cmp_ne_u64_e64 s[0:1], 0, v[18:19]
	s_or_b64 s[0:1], vcc, s[0:1]
                                        ; implicit-def: $vgpr19
	s_and_saveexec_b64 s[28:29], s[0:1]
	s_xor_b64 s[0:1], exec, s[28:29]
; %bb.117:                              ;   in Loop: Header=BB0_29 Depth=1
	v_min_i32_e32 v19, 15, v23
	v_lshl_or_b32 v19, v19, 3, v22
	v_and_or_b32 v19, v18, 7, v19
                                        ; implicit-def: $vgpr22
; %bb.118:                              ;   in Loop: Header=BB0_29 Depth=1
	s_andn2_saveexec_b64 s[0:1], s[0:1]
; %bb.119:                              ;   in Loop: Header=BB0_29 Depth=1
	v_mov_b32_e32 v19, v22
; %bb.120:                              ;   in Loop: Header=BB0_29 Depth=1
	s_or_b64 exec, exec, s[0:1]
.LBB0_121:                              ;   in Loop: Header=BB0_29 Depth=1
	s_or_b64 exec, exec, s[16:17]
.LBB0_122:                              ;   in Loop: Header=BB0_29 Depth=1
	s_andn2_saveexec_b64 s[0:1], s[14:15]
	s_or_b64 exec, exec, s[0:1]
                                        ; implicit-def: $vgpr18
.LBB0_123:                              ;   in Loop: Header=BB0_29 Depth=1
	s_andn2_saveexec_b64 s[0:1], s[12:13]
; %bb.124:                              ;   in Loop: Header=BB0_29 Depth=1
	v_or_b32_sdwa v18, v18, s26 dst_sel:DWORD dst_unused:UNUSED_PAD src0_sel:BYTE_3 src1_sel:DWORD
	v_cmp_eq_u64_e32 vcc, 0, v[34:35]
	v_cndmask_b32_e32 v19, v18, v19, vcc
; %bb.125:                              ;   in Loop: Header=BB0_29 Depth=1
	s_or_b64 exec, exec, s[0:1]
	v_add_u32_e32 v18, 5, v37
	global_store_byte v18, v19, s[2:3]
	v_mul_f32_e32 v18, v20, v1
	v_mul_f32_e32 v18, v18, v24
	v_mul_f32_e32 v18, v40, v18
	v_min_f32_e32 v18, 0x43e00000, v18
	v_max_f32_e32 v18, 0xc3e00000, v18
	v_and_b32_sdwa v20, v18, s24 dst_sel:DWORD dst_unused:UNUSED_PAD src0_sel:BYTE_3 src1_sel:DWORD
	v_and_b32_e32 v22, 0x7f800000, v18
	v_mov_b32_e32 v23, v35
	v_and_b32_e32 v34, 0x7fffff, v18
	v_or_b32_e32 v19, 0x7e, v20
	v_cmp_ne_u64_e32 vcc, s[6:7], v[22:23]
	s_and_saveexec_b64 s[0:1], vcc
	s_xor_b64 s[12:13], exec, s[0:1]
	s_cbranch_execz .LBB0_139
; %bb.126:                              ;   in Loop: Header=BB0_29 Depth=1
	v_and_b32_e32 v22, 0x7fffffff, v18
	v_mov_b32_e32 v23, v35
	v_cmp_gt_u64_e32 vcc, s[10:11], v[22:23]
	s_and_saveexec_b64 s[0:1], vcc
	s_xor_b64 s[14:15], exec, s[0:1]
	s_cbranch_execz .LBB0_138
; %bb.127:                              ;   in Loop: Header=BB0_29 Depth=1
	v_cmp_ne_u32_e32 vcc, 0, v18
	v_mov_b32_e32 v19, 0
	s_and_saveexec_b64 s[16:17], vcc
	s_cbranch_execz .LBB0_137
; %bb.128:                              ;   in Loop: Header=BB0_29 Depth=1
	v_bfe_u32 v18, v18, 23, 8
	v_sub_u32_e64 v19, s25, v18 clamp
	v_cmp_eq_u32_e32 vcc, 0, v18
	v_cndmask_b32_e32 v26, v19, v41, vcc
	v_add_u32_e32 v24, 0xffffff88, v18
	v_add_u32_e32 v18, 20, v26
	v_or_b32_e32 v22, 0x800000, v34
	v_lshlrev_b64 v[18:19], v18, -1
	v_cndmask_b32_e32 v34, v22, v34, vcc
	v_not_b32_e32 v19, v19
	v_not_b32_e32 v18, v18
	v_add_u32_e32 v22, 19, v26
	v_and_b32_e32 v19, 0, v19
	v_and_b32_e32 v18, v34, v18
	v_lshlrev_b64 v[22:23], v22, 1
	v_cmp_eq_u64_e64 s[0:1], v[18:19], v[22:23]
	v_lshrrev_b64 v[18:19], v26, v[34:35]
	v_and_b32_e32 v34, 0x100000, v18
	v_cndmask_b32_e32 v22, v24, v42, vcc
	v_cmp_eq_u64_e32 vcc, 0, v[34:35]
	v_lshrrev_b32_e32 v23, 23, v18
	s_and_b64 vcc, vcc, s[0:1]
	v_add3_u32 v23, v22, v26, v23
	v_subbrev_co_u32_e32 v22, vcc, 0, v18, vcc
	v_and_b32_e32 v22, 0xfffff, v22
	v_add_co_u32_e32 v18, vcc, v22, v18
	v_add_u32_e32 v24, -1, v23
	v_addc_co_u32_e32 v19, vcc, 0, v19, vcc
	v_cmp_ne_u32_e32 vcc, 0, v24
                                        ; implicit-def: $vgpr22
	s_and_saveexec_b64 s[0:1], vcc
	s_xor_b64 s[0:1], exec, s[0:1]
; %bb.129:                              ;   in Loop: Header=BB0_29 Depth=1
	v_and_b32_e32 v34, 0x1000000, v18
	v_cmp_eq_u64_e32 vcc, 0, v[34:35]
	v_cndmask_b32_e32 v22, v23, v24, vcc
	v_bfe_u32 v23, v18, 24, 1
	v_lshrrev_b64 v[18:19], v23, v[18:19]
; %bb.130:                              ;   in Loop: Header=BB0_29 Depth=1
	s_andn2_saveexec_b64 s[0:1], s[0:1]
; %bb.131:                              ;   in Loop: Header=BB0_29 Depth=1
	v_bfe_u32 v22, v18, 23, 1
; %bb.132:                              ;   in Loop: Header=BB0_29 Depth=1
	s_or_b64 exec, exec, s[0:1]
	v_lshrrev_b64 v[18:19], 20, v[18:19]
	v_cmp_gt_i32_e32 vcc, 16, v22
	v_cndmask_b32_e32 v19, 0, v19, vcc
	v_cndmask_b32_e32 v18, 7, v18, vcc
	v_cmp_ne_u32_e32 vcc, 0, v22
	v_cmp_ne_u64_e64 s[0:1], 0, v[18:19]
	s_or_b64 s[0:1], vcc, s[0:1]
                                        ; implicit-def: $vgpr19
	s_and_saveexec_b64 s[28:29], s[0:1]
	s_xor_b64 s[0:1], exec, s[28:29]
; %bb.133:                              ;   in Loop: Header=BB0_29 Depth=1
	v_min_i32_e32 v19, 15, v22
	v_lshl_or_b32 v19, v19, 3, v20
	v_and_or_b32 v19, v18, 7, v19
                                        ; implicit-def: $vgpr20
; %bb.134:                              ;   in Loop: Header=BB0_29 Depth=1
	s_andn2_saveexec_b64 s[0:1], s[0:1]
; %bb.135:                              ;   in Loop: Header=BB0_29 Depth=1
	v_mov_b32_e32 v19, v20
; %bb.136:                              ;   in Loop: Header=BB0_29 Depth=1
	s_or_b64 exec, exec, s[0:1]
.LBB0_137:                              ;   in Loop: Header=BB0_29 Depth=1
	s_or_b64 exec, exec, s[16:17]
.LBB0_138:                              ;   in Loop: Header=BB0_29 Depth=1
	s_andn2_saveexec_b64 s[0:1], s[14:15]
	s_or_b64 exec, exec, s[0:1]
                                        ; implicit-def: $vgpr18
.LBB0_139:                              ;   in Loop: Header=BB0_29 Depth=1
	s_andn2_saveexec_b64 s[0:1], s[12:13]
; %bb.140:                              ;   in Loop: Header=BB0_29 Depth=1
	v_or_b32_sdwa v18, v18, s26 dst_sel:DWORD dst_unused:UNUSED_PAD src0_sel:BYTE_3 src1_sel:DWORD
	v_cmp_eq_u64_e32 vcc, 0, v[34:35]
	v_cndmask_b32_e32 v19, v18, v19, vcc
; %bb.141:                              ;   in Loop: Header=BB0_29 Depth=1
	s_or_b64 exec, exec, s[0:1]
	v_add_u32_e32 v18, 6, v37
	global_store_byte v18, v19, s[2:3]
	v_mul_f32_e32 v18, v21, v1
	v_mul_f32_e32 v18, v18, v25
	;; [unrolled: 1-line block ×3, first 2 shown]
	v_min_f32_e32 v18, 0x43e00000, v18
	v_max_f32_e32 v18, 0xc3e00000, v18
	v_and_b32_sdwa v20, v18, s24 dst_sel:DWORD dst_unused:UNUSED_PAD src0_sel:BYTE_3 src1_sel:DWORD
	v_and_b32_e32 v22, 0x7f800000, v18
	v_mov_b32_e32 v23, v35
	v_and_b32_e32 v34, 0x7fffff, v18
	v_or_b32_e32 v19, 0x7e, v20
	v_cmp_ne_u64_e32 vcc, s[6:7], v[22:23]
	s_and_saveexec_b64 s[0:1], vcc
	s_xor_b64 s[12:13], exec, s[0:1]
	s_cbranch_execz .LBB0_155
; %bb.142:                              ;   in Loop: Header=BB0_29 Depth=1
	v_and_b32_e32 v22, 0x7fffffff, v18
	v_mov_b32_e32 v23, v35
	v_cmp_gt_u64_e32 vcc, s[10:11], v[22:23]
	s_and_saveexec_b64 s[0:1], vcc
	s_xor_b64 s[14:15], exec, s[0:1]
	s_cbranch_execz .LBB0_154
; %bb.143:                              ;   in Loop: Header=BB0_29 Depth=1
	v_cmp_ne_u32_e32 vcc, 0, v18
	v_mov_b32_e32 v19, 0
	s_and_saveexec_b64 s[16:17], vcc
	s_cbranch_execz .LBB0_153
; %bb.144:                              ;   in Loop: Header=BB0_29 Depth=1
	v_bfe_u32 v18, v18, 23, 8
	v_sub_u32_e64 v19, s25, v18 clamp
	v_cmp_eq_u32_e32 vcc, 0, v18
	v_cndmask_b32_e32 v25, v19, v41, vcc
	v_add_u32_e32 v24, 0xffffff88, v18
	v_add_u32_e32 v18, 20, v25
	v_or_b32_e32 v21, 0x800000, v34
	v_lshlrev_b64 v[18:19], v18, -1
	v_cndmask_b32_e32 v34, v21, v34, vcc
	v_not_b32_e32 v19, v19
	v_not_b32_e32 v18, v18
	v_add_u32_e32 v21, 19, v25
	v_and_b32_e32 v19, 0, v19
	v_and_b32_e32 v18, v34, v18
	v_lshlrev_b64 v[22:23], v21, 1
	v_cmp_eq_u64_e64 s[0:1], v[18:19], v[22:23]
	v_lshrrev_b64 v[18:19], v25, v[34:35]
	v_and_b32_e32 v34, 0x100000, v18
	v_cndmask_b32_e32 v21, v24, v42, vcc
	v_cmp_eq_u64_e32 vcc, 0, v[34:35]
	v_lshrrev_b32_e32 v22, 23, v18
	s_and_b64 vcc, vcc, s[0:1]
	v_add3_u32 v22, v21, v25, v22
	v_subbrev_co_u32_e32 v21, vcc, 0, v18, vcc
	v_and_b32_e32 v21, 0xfffff, v21
	v_add_co_u32_e32 v18, vcc, v21, v18
	v_add_u32_e32 v23, -1, v22
	v_addc_co_u32_e32 v19, vcc, 0, v19, vcc
	v_cmp_ne_u32_e32 vcc, 0, v23
                                        ; implicit-def: $vgpr21
	s_and_saveexec_b64 s[0:1], vcc
	s_xor_b64 s[0:1], exec, s[0:1]
; %bb.145:                              ;   in Loop: Header=BB0_29 Depth=1
	v_and_b32_e32 v34, 0x1000000, v18
	v_cmp_eq_u64_e32 vcc, 0, v[34:35]
	v_cndmask_b32_e32 v21, v22, v23, vcc
	v_bfe_u32 v22, v18, 24, 1
	v_lshrrev_b64 v[18:19], v22, v[18:19]
; %bb.146:                              ;   in Loop: Header=BB0_29 Depth=1
	s_andn2_saveexec_b64 s[0:1], s[0:1]
; %bb.147:                              ;   in Loop: Header=BB0_29 Depth=1
	v_bfe_u32 v21, v18, 23, 1
; %bb.148:                              ;   in Loop: Header=BB0_29 Depth=1
	s_or_b64 exec, exec, s[0:1]
	v_lshrrev_b64 v[18:19], 20, v[18:19]
	v_cmp_gt_i32_e32 vcc, 16, v21
	v_cndmask_b32_e32 v19, 0, v19, vcc
	v_cndmask_b32_e32 v18, 7, v18, vcc
	v_cmp_ne_u32_e32 vcc, 0, v21
	v_cmp_ne_u64_e64 s[0:1], 0, v[18:19]
	s_or_b64 s[0:1], vcc, s[0:1]
                                        ; implicit-def: $vgpr19
	s_and_saveexec_b64 s[28:29], s[0:1]
	s_xor_b64 s[0:1], exec, s[28:29]
; %bb.149:                              ;   in Loop: Header=BB0_29 Depth=1
	v_min_i32_e32 v19, 15, v21
	v_lshl_or_b32 v19, v19, 3, v20
	v_and_or_b32 v19, v18, 7, v19
                                        ; implicit-def: $vgpr20
; %bb.150:                              ;   in Loop: Header=BB0_29 Depth=1
	s_andn2_saveexec_b64 s[0:1], s[0:1]
; %bb.151:                              ;   in Loop: Header=BB0_29 Depth=1
	v_mov_b32_e32 v19, v20
; %bb.152:                              ;   in Loop: Header=BB0_29 Depth=1
	s_or_b64 exec, exec, s[0:1]
.LBB0_153:                              ;   in Loop: Header=BB0_29 Depth=1
	s_or_b64 exec, exec, s[16:17]
.LBB0_154:                              ;   in Loop: Header=BB0_29 Depth=1
	s_andn2_saveexec_b64 s[0:1], s[14:15]
	s_or_b64 exec, exec, s[0:1]
                                        ; implicit-def: $vgpr18
.LBB0_155:                              ;   in Loop: Header=BB0_29 Depth=1
	s_andn2_saveexec_b64 s[0:1], s[12:13]
; %bb.156:                              ;   in Loop: Header=BB0_29 Depth=1
	v_or_b32_sdwa v18, v18, s26 dst_sel:DWORD dst_unused:UNUSED_PAD src0_sel:BYTE_3 src1_sel:DWORD
	v_cmp_eq_u64_e32 vcc, 0, v[34:35]
	v_cndmask_b32_e32 v19, v18, v19, vcc
; %bb.157:                              ;   in Loop: Header=BB0_29 Depth=1
	s_or_b64 exec, exec, s[0:1]
	s_waitcnt vmcnt(9)
	v_mul_f32_e32 v10, v10, v1
	s_waitcnt vmcnt(7)
	v_mul_f32_e32 v10, v10, v14
	v_mul_f32_e32 v10, v40, v10
	v_add_u32_e32 v18, 7, v37
	v_min_f32_e32 v10, 0x43e00000, v10
	global_store_byte v18, v19, s[2:3]
	v_max_f32_e32 v18, 0xc3e00000, v10
	v_and_b32_sdwa v10, v18, s24 dst_sel:DWORD dst_unused:UNUSED_PAD src0_sel:BYTE_3 src1_sel:DWORD
	v_and_b32_e32 v20, 0x7f800000, v18
	v_mov_b32_e32 v21, v35
	v_and_b32_e32 v34, 0x7fffff, v18
	v_or_b32_e32 v14, 0x7e, v10
	v_cmp_ne_u64_e32 vcc, s[6:7], v[20:21]
	s_and_saveexec_b64 s[0:1], vcc
	s_xor_b64 s[12:13], exec, s[0:1]
	s_cbranch_execz .LBB0_171
; %bb.158:                              ;   in Loop: Header=BB0_29 Depth=1
	v_and_b32_e32 v20, 0x7fffffff, v18
	v_mov_b32_e32 v21, v35
	v_cmp_gt_u64_e32 vcc, s[10:11], v[20:21]
	s_and_saveexec_b64 s[0:1], vcc
	s_xor_b64 s[14:15], exec, s[0:1]
	s_cbranch_execz .LBB0_170
; %bb.159:                              ;   in Loop: Header=BB0_29 Depth=1
	v_cmp_ne_u32_e32 vcc, 0, v18
	v_mov_b32_e32 v14, 0
	s_and_saveexec_b64 s[16:17], vcc
	s_cbranch_execz .LBB0_169
; %bb.160:                              ;   in Loop: Header=BB0_29 Depth=1
	v_bfe_u32 v14, v18, 23, 8
	v_sub_u32_e64 v18, s25, v14 clamp
	v_cmp_eq_u32_e32 vcc, 0, v14
	v_add_u32_e32 v22, 0xffffff88, v14
	v_cndmask_b32_e32 v14, v18, v41, vcc
	v_or_b32_e32 v19, 0x800000, v34
	v_add_u32_e32 v18, 20, v14
	v_cndmask_b32_e32 v34, v19, v34, vcc
	v_lshlrev_b64 v[18:19], v18, -1
	v_not_b32_e32 v19, v19
	v_not_b32_e32 v18, v18
	v_add_u32_e32 v20, 19, v14
	v_and_b32_e32 v19, 0, v19
	v_and_b32_e32 v18, v34, v18
	v_lshlrev_b64 v[20:21], v20, 1
	v_cmp_eq_u64_e64 s[0:1], v[18:19], v[20:21]
	v_lshrrev_b64 v[18:19], v14, v[34:35]
	v_and_b32_e32 v34, 0x100000, v18
	v_cndmask_b32_e32 v20, v22, v42, vcc
	v_cmp_eq_u64_e32 vcc, 0, v[34:35]
	v_lshrrev_b32_e32 v21, 23, v18
	s_and_b64 vcc, vcc, s[0:1]
	v_add3_u32 v14, v20, v14, v21
	v_subbrev_co_u32_e32 v20, vcc, 0, v18, vcc
	v_and_b32_e32 v20, 0xfffff, v20
	v_add_co_u32_e32 v18, vcc, v20, v18
	v_add_u32_e32 v21, -1, v14
	v_addc_co_u32_e32 v19, vcc, 0, v19, vcc
	v_cmp_ne_u32_e32 vcc, 0, v21
                                        ; implicit-def: $vgpr20
	s_and_saveexec_b64 s[0:1], vcc
	s_xor_b64 s[0:1], exec, s[0:1]
; %bb.161:                              ;   in Loop: Header=BB0_29 Depth=1
	v_and_b32_e32 v34, 0x1000000, v18
	v_cmp_eq_u64_e32 vcc, 0, v[34:35]
	v_cndmask_b32_e32 v20, v14, v21, vcc
	v_bfe_u32 v14, v18, 24, 1
	v_lshrrev_b64 v[18:19], v14, v[18:19]
; %bb.162:                              ;   in Loop: Header=BB0_29 Depth=1
	s_andn2_saveexec_b64 s[0:1], s[0:1]
; %bb.163:                              ;   in Loop: Header=BB0_29 Depth=1
	v_bfe_u32 v20, v18, 23, 1
; %bb.164:                              ;   in Loop: Header=BB0_29 Depth=1
	s_or_b64 exec, exec, s[0:1]
	v_lshrrev_b64 v[18:19], 20, v[18:19]
	v_cmp_gt_i32_e32 vcc, 16, v20
	v_cndmask_b32_e32 v19, 0, v19, vcc
	v_cndmask_b32_e32 v18, 7, v18, vcc
	v_cmp_ne_u32_e32 vcc, 0, v20
	v_cmp_ne_u64_e64 s[0:1], 0, v[18:19]
	s_or_b64 s[0:1], vcc, s[0:1]
                                        ; implicit-def: $vgpr14
	s_and_saveexec_b64 s[28:29], s[0:1]
	s_xor_b64 s[0:1], exec, s[28:29]
; %bb.165:                              ;   in Loop: Header=BB0_29 Depth=1
	v_min_i32_e32 v14, 15, v20
	v_lshl_or_b32 v10, v14, 3, v10
	v_and_or_b32 v14, v18, 7, v10
                                        ; implicit-def: $vgpr10
; %bb.166:                              ;   in Loop: Header=BB0_29 Depth=1
	s_andn2_saveexec_b64 s[0:1], s[0:1]
; %bb.167:                              ;   in Loop: Header=BB0_29 Depth=1
	v_mov_b32_e32 v14, v10
; %bb.168:                              ;   in Loop: Header=BB0_29 Depth=1
	s_or_b64 exec, exec, s[0:1]
.LBB0_169:                              ;   in Loop: Header=BB0_29 Depth=1
	s_or_b64 exec, exec, s[16:17]
.LBB0_170:                              ;   in Loop: Header=BB0_29 Depth=1
	s_andn2_saveexec_b64 s[0:1], s[14:15]
	s_or_b64 exec, exec, s[0:1]
                                        ; implicit-def: $vgpr18
.LBB0_171:                              ;   in Loop: Header=BB0_29 Depth=1
	s_andn2_saveexec_b64 s[0:1], s[12:13]
; %bb.172:                              ;   in Loop: Header=BB0_29 Depth=1
	v_or_b32_sdwa v10, v18, s26 dst_sel:DWORD dst_unused:UNUSED_PAD src0_sel:BYTE_3 src1_sel:DWORD
	v_cmp_eq_u64_e32 vcc, 0, v[34:35]
	v_cndmask_b32_e32 v14, v10, v14, vcc
; %bb.173:                              ;   in Loop: Header=BB0_29 Depth=1
	s_or_b64 exec, exec, s[0:1]
	v_add_u32_e32 v10, 8, v37
	global_store_byte v10, v14, s[2:3]
	v_mul_f32_e32 v10, v11, v1
	v_mul_f32_e32 v10, v10, v15
	;; [unrolled: 1-line block ×3, first 2 shown]
	v_min_f32_e32 v10, 0x43e00000, v10
	v_max_f32_e32 v10, 0xc3e00000, v10
	v_and_b32_sdwa v14, v10, s24 dst_sel:DWORD dst_unused:UNUSED_PAD src0_sel:BYTE_3 src1_sel:DWORD
	v_and_b32_e32 v18, 0x7f800000, v10
	v_mov_b32_e32 v19, v35
	v_and_b32_e32 v34, 0x7fffff, v10
	v_or_b32_e32 v11, 0x7e, v14
	v_cmp_ne_u64_e32 vcc, s[6:7], v[18:19]
	s_and_saveexec_b64 s[0:1], vcc
	s_xor_b64 s[12:13], exec, s[0:1]
	s_cbranch_execz .LBB0_187
; %bb.174:                              ;   in Loop: Header=BB0_29 Depth=1
	v_and_b32_e32 v18, 0x7fffffff, v10
	v_mov_b32_e32 v19, v35
	v_cmp_gt_u64_e32 vcc, s[10:11], v[18:19]
	s_and_saveexec_b64 s[0:1], vcc
	s_xor_b64 s[14:15], exec, s[0:1]
	s_cbranch_execz .LBB0_186
; %bb.175:                              ;   in Loop: Header=BB0_29 Depth=1
	v_cmp_ne_u32_e32 vcc, 0, v10
	v_mov_b32_e32 v11, 0
	s_and_saveexec_b64 s[16:17], vcc
	s_cbranch_execz .LBB0_185
; %bb.176:                              ;   in Loop: Header=BB0_29 Depth=1
	v_bfe_u32 v10, v10, 23, 8
	v_sub_u32_e64 v11, s25, v10 clamp
	v_cmp_eq_u32_e32 vcc, 0, v10
	v_cndmask_b32_e32 v21, v11, v41, vcc
	v_add_u32_e32 v20, 0xffffff88, v10
	v_add_u32_e32 v10, 20, v21
	v_or_b32_e32 v15, 0x800000, v34
	v_lshlrev_b64 v[10:11], v10, -1
	v_cndmask_b32_e32 v34, v15, v34, vcc
	v_not_b32_e32 v11, v11
	v_not_b32_e32 v10, v10
	v_add_u32_e32 v15, 19, v21
	v_and_b32_e32 v11, 0, v11
	v_and_b32_e32 v10, v34, v10
	v_lshlrev_b64 v[18:19], v15, 1
	v_cmp_eq_u64_e64 s[0:1], v[10:11], v[18:19]
	v_lshrrev_b64 v[10:11], v21, v[34:35]
	v_and_b32_e32 v34, 0x100000, v10
	v_cndmask_b32_e32 v15, v20, v42, vcc
	v_cmp_eq_u64_e32 vcc, 0, v[34:35]
	v_lshrrev_b32_e32 v18, 23, v10
	s_and_b64 vcc, vcc, s[0:1]
	v_add3_u32 v18, v15, v21, v18
	v_subbrev_co_u32_e32 v15, vcc, 0, v10, vcc
	v_and_b32_e32 v15, 0xfffff, v15
	v_add_co_u32_e32 v10, vcc, v15, v10
	v_add_u32_e32 v19, -1, v18
	v_addc_co_u32_e32 v11, vcc, 0, v11, vcc
	v_cmp_ne_u32_e32 vcc, 0, v19
                                        ; implicit-def: $vgpr15
	s_and_saveexec_b64 s[0:1], vcc
	s_xor_b64 s[0:1], exec, s[0:1]
; %bb.177:                              ;   in Loop: Header=BB0_29 Depth=1
	v_and_b32_e32 v34, 0x1000000, v10
	v_cmp_eq_u64_e32 vcc, 0, v[34:35]
	v_cndmask_b32_e32 v15, v18, v19, vcc
	v_bfe_u32 v18, v10, 24, 1
	v_lshrrev_b64 v[10:11], v18, v[10:11]
; %bb.178:                              ;   in Loop: Header=BB0_29 Depth=1
	s_andn2_saveexec_b64 s[0:1], s[0:1]
; %bb.179:                              ;   in Loop: Header=BB0_29 Depth=1
	v_bfe_u32 v15, v10, 23, 1
; %bb.180:                              ;   in Loop: Header=BB0_29 Depth=1
	s_or_b64 exec, exec, s[0:1]
	v_lshrrev_b64 v[10:11], 20, v[10:11]
	v_cmp_gt_i32_e32 vcc, 16, v15
	v_cndmask_b32_e32 v11, 0, v11, vcc
	v_cndmask_b32_e32 v10, 7, v10, vcc
	v_cmp_ne_u32_e32 vcc, 0, v15
	v_cmp_ne_u64_e64 s[0:1], 0, v[10:11]
	s_or_b64 s[0:1], vcc, s[0:1]
                                        ; implicit-def: $vgpr11
	s_and_saveexec_b64 s[28:29], s[0:1]
	s_xor_b64 s[0:1], exec, s[28:29]
; %bb.181:                              ;   in Loop: Header=BB0_29 Depth=1
	v_min_i32_e32 v11, 15, v15
	v_lshl_or_b32 v11, v11, 3, v14
	v_and_or_b32 v11, v10, 7, v11
                                        ; implicit-def: $vgpr14
; %bb.182:                              ;   in Loop: Header=BB0_29 Depth=1
	s_andn2_saveexec_b64 s[0:1], s[0:1]
; %bb.183:                              ;   in Loop: Header=BB0_29 Depth=1
	v_mov_b32_e32 v11, v14
; %bb.184:                              ;   in Loop: Header=BB0_29 Depth=1
	s_or_b64 exec, exec, s[0:1]
.LBB0_185:                              ;   in Loop: Header=BB0_29 Depth=1
	s_or_b64 exec, exec, s[16:17]
.LBB0_186:                              ;   in Loop: Header=BB0_29 Depth=1
	s_andn2_saveexec_b64 s[0:1], s[14:15]
	s_or_b64 exec, exec, s[0:1]
                                        ; implicit-def: $vgpr10
.LBB0_187:                              ;   in Loop: Header=BB0_29 Depth=1
	s_andn2_saveexec_b64 s[0:1], s[12:13]
; %bb.188:                              ;   in Loop: Header=BB0_29 Depth=1
	v_or_b32_sdwa v10, v10, s26 dst_sel:DWORD dst_unused:UNUSED_PAD src0_sel:BYTE_3 src1_sel:DWORD
	v_cmp_eq_u64_e32 vcc, 0, v[34:35]
	v_cndmask_b32_e32 v11, v10, v11, vcc
; %bb.189:                              ;   in Loop: Header=BB0_29 Depth=1
	s_or_b64 exec, exec, s[0:1]
	v_add_u32_e32 v10, 9, v37
	global_store_byte v10, v11, s[2:3]
	v_mul_f32_e32 v10, v12, v1
	v_mul_f32_e32 v10, v10, v16
	;; [unrolled: 1-line block ×3, first 2 shown]
	v_min_f32_e32 v10, 0x43e00000, v10
	v_max_f32_e32 v10, 0xc3e00000, v10
	v_and_b32_sdwa v12, v10, s24 dst_sel:DWORD dst_unused:UNUSED_PAD src0_sel:BYTE_3 src1_sel:DWORD
	v_and_b32_e32 v14, 0x7f800000, v10
	v_mov_b32_e32 v15, v35
	v_and_b32_e32 v34, 0x7fffff, v10
	v_or_b32_e32 v11, 0x7e, v12
	v_cmp_ne_u64_e32 vcc, s[6:7], v[14:15]
	s_and_saveexec_b64 s[0:1], vcc
	s_xor_b64 s[12:13], exec, s[0:1]
	s_cbranch_execz .LBB0_203
; %bb.190:                              ;   in Loop: Header=BB0_29 Depth=1
	v_and_b32_e32 v14, 0x7fffffff, v10
	v_mov_b32_e32 v15, v35
	v_cmp_gt_u64_e32 vcc, s[10:11], v[14:15]
	s_and_saveexec_b64 s[0:1], vcc
	s_xor_b64 s[14:15], exec, s[0:1]
	s_cbranch_execz .LBB0_202
; %bb.191:                              ;   in Loop: Header=BB0_29 Depth=1
	v_cmp_ne_u32_e32 vcc, 0, v10
	v_mov_b32_e32 v11, 0
	s_and_saveexec_b64 s[16:17], vcc
	s_cbranch_execz .LBB0_201
; %bb.192:                              ;   in Loop: Header=BB0_29 Depth=1
	v_bfe_u32 v10, v10, 23, 8
	v_sub_u32_e64 v11, s25, v10 clamp
	v_cmp_eq_u32_e32 vcc, 0, v10
	v_cndmask_b32_e32 v18, v11, v41, vcc
	v_add_u32_e32 v16, 0xffffff88, v10
	v_add_u32_e32 v10, 20, v18
	v_or_b32_e32 v14, 0x800000, v34
	v_lshlrev_b64 v[10:11], v10, -1
	v_cndmask_b32_e32 v34, v14, v34, vcc
	v_not_b32_e32 v11, v11
	v_not_b32_e32 v10, v10
	v_add_u32_e32 v14, 19, v18
	v_and_b32_e32 v11, 0, v11
	v_and_b32_e32 v10, v34, v10
	v_lshlrev_b64 v[14:15], v14, 1
	v_cmp_eq_u64_e64 s[0:1], v[10:11], v[14:15]
	v_lshrrev_b64 v[10:11], v18, v[34:35]
	v_and_b32_e32 v34, 0x100000, v10
	v_cndmask_b32_e32 v14, v16, v42, vcc
	v_cmp_eq_u64_e32 vcc, 0, v[34:35]
	v_lshrrev_b32_e32 v15, 23, v10
	s_and_b64 vcc, vcc, s[0:1]
	v_add3_u32 v15, v14, v18, v15
	v_subbrev_co_u32_e32 v14, vcc, 0, v10, vcc
	v_and_b32_e32 v14, 0xfffff, v14
	v_add_co_u32_e32 v10, vcc, v14, v10
	v_add_u32_e32 v16, -1, v15
	v_addc_co_u32_e32 v11, vcc, 0, v11, vcc
	v_cmp_ne_u32_e32 vcc, 0, v16
                                        ; implicit-def: $vgpr14
	s_and_saveexec_b64 s[0:1], vcc
	s_xor_b64 s[0:1], exec, s[0:1]
; %bb.193:                              ;   in Loop: Header=BB0_29 Depth=1
	v_and_b32_e32 v34, 0x1000000, v10
	v_cmp_eq_u64_e32 vcc, 0, v[34:35]
	v_cndmask_b32_e32 v14, v15, v16, vcc
	v_bfe_u32 v15, v10, 24, 1
	v_lshrrev_b64 v[10:11], v15, v[10:11]
; %bb.194:                              ;   in Loop: Header=BB0_29 Depth=1
	s_andn2_saveexec_b64 s[0:1], s[0:1]
; %bb.195:                              ;   in Loop: Header=BB0_29 Depth=1
	v_bfe_u32 v14, v10, 23, 1
; %bb.196:                              ;   in Loop: Header=BB0_29 Depth=1
	s_or_b64 exec, exec, s[0:1]
	v_lshrrev_b64 v[10:11], 20, v[10:11]
	v_cmp_gt_i32_e32 vcc, 16, v14
	v_cndmask_b32_e32 v11, 0, v11, vcc
	v_cndmask_b32_e32 v10, 7, v10, vcc
	v_cmp_ne_u32_e32 vcc, 0, v14
	v_cmp_ne_u64_e64 s[0:1], 0, v[10:11]
	s_or_b64 s[0:1], vcc, s[0:1]
                                        ; implicit-def: $vgpr11
	s_and_saveexec_b64 s[28:29], s[0:1]
	s_xor_b64 s[0:1], exec, s[28:29]
; %bb.197:                              ;   in Loop: Header=BB0_29 Depth=1
	v_min_i32_e32 v11, 15, v14
	v_lshl_or_b32 v11, v11, 3, v12
	v_and_or_b32 v11, v10, 7, v11
                                        ; implicit-def: $vgpr12
; %bb.198:                              ;   in Loop: Header=BB0_29 Depth=1
	s_andn2_saveexec_b64 s[0:1], s[0:1]
; %bb.199:                              ;   in Loop: Header=BB0_29 Depth=1
	v_mov_b32_e32 v11, v12
; %bb.200:                              ;   in Loop: Header=BB0_29 Depth=1
	s_or_b64 exec, exec, s[0:1]
.LBB0_201:                              ;   in Loop: Header=BB0_29 Depth=1
	s_or_b64 exec, exec, s[16:17]
.LBB0_202:                              ;   in Loop: Header=BB0_29 Depth=1
	s_andn2_saveexec_b64 s[0:1], s[14:15]
	s_or_b64 exec, exec, s[0:1]
                                        ; implicit-def: $vgpr10
.LBB0_203:                              ;   in Loop: Header=BB0_29 Depth=1
	s_andn2_saveexec_b64 s[0:1], s[12:13]
; %bb.204:                              ;   in Loop: Header=BB0_29 Depth=1
	v_or_b32_sdwa v10, v10, s26 dst_sel:DWORD dst_unused:UNUSED_PAD src0_sel:BYTE_3 src1_sel:DWORD
	v_cmp_eq_u64_e32 vcc, 0, v[34:35]
	v_cndmask_b32_e32 v11, v10, v11, vcc
; %bb.205:                              ;   in Loop: Header=BB0_29 Depth=1
	s_or_b64 exec, exec, s[0:1]
	v_add_u32_e32 v10, 10, v37
	global_store_byte v10, v11, s[2:3]
	v_mul_f32_e32 v10, v13, v1
	v_mul_f32_e32 v10, v10, v17
	;; [unrolled: 1-line block ×3, first 2 shown]
	v_min_f32_e32 v10, 0x43e00000, v10
	v_max_f32_e32 v10, 0xc3e00000, v10
	v_and_b32_sdwa v12, v10, s24 dst_sel:DWORD dst_unused:UNUSED_PAD src0_sel:BYTE_3 src1_sel:DWORD
	v_and_b32_e32 v14, 0x7f800000, v10
	v_mov_b32_e32 v15, v35
	v_and_b32_e32 v34, 0x7fffff, v10
	v_or_b32_e32 v11, 0x7e, v12
	v_cmp_ne_u64_e32 vcc, s[6:7], v[14:15]
	s_and_saveexec_b64 s[0:1], vcc
	s_xor_b64 s[12:13], exec, s[0:1]
	s_cbranch_execz .LBB0_219
; %bb.206:                              ;   in Loop: Header=BB0_29 Depth=1
	v_and_b32_e32 v14, 0x7fffffff, v10
	v_mov_b32_e32 v15, v35
	v_cmp_gt_u64_e32 vcc, s[10:11], v[14:15]
	s_and_saveexec_b64 s[0:1], vcc
	s_xor_b64 s[14:15], exec, s[0:1]
	s_cbranch_execz .LBB0_218
; %bb.207:                              ;   in Loop: Header=BB0_29 Depth=1
	v_cmp_ne_u32_e32 vcc, 0, v10
	v_mov_b32_e32 v11, 0
	s_and_saveexec_b64 s[16:17], vcc
	s_cbranch_execz .LBB0_217
; %bb.208:                              ;   in Loop: Header=BB0_29 Depth=1
	v_bfe_u32 v10, v10, 23, 8
	v_sub_u32_e64 v11, s25, v10 clamp
	v_cmp_eq_u32_e32 vcc, 0, v10
	v_cndmask_b32_e32 v17, v11, v41, vcc
	v_add_u32_e32 v16, 0xffffff88, v10
	v_add_u32_e32 v10, 20, v17
	v_or_b32_e32 v13, 0x800000, v34
	v_lshlrev_b64 v[10:11], v10, -1
	v_cndmask_b32_e32 v34, v13, v34, vcc
	v_not_b32_e32 v11, v11
	v_not_b32_e32 v10, v10
	v_add_u32_e32 v13, 19, v17
	v_and_b32_e32 v11, 0, v11
	v_and_b32_e32 v10, v34, v10
	v_lshlrev_b64 v[14:15], v13, 1
	v_cmp_eq_u64_e64 s[0:1], v[10:11], v[14:15]
	v_lshrrev_b64 v[10:11], v17, v[34:35]
	v_and_b32_e32 v34, 0x100000, v10
	v_cndmask_b32_e32 v13, v16, v42, vcc
	v_cmp_eq_u64_e32 vcc, 0, v[34:35]
	v_lshrrev_b32_e32 v14, 23, v10
	s_and_b64 vcc, vcc, s[0:1]
	v_add3_u32 v14, v13, v17, v14
	v_subbrev_co_u32_e32 v13, vcc, 0, v10, vcc
	v_and_b32_e32 v13, 0xfffff, v13
	v_add_co_u32_e32 v10, vcc, v13, v10
	v_add_u32_e32 v15, -1, v14
	v_addc_co_u32_e32 v11, vcc, 0, v11, vcc
	v_cmp_ne_u32_e32 vcc, 0, v15
                                        ; implicit-def: $vgpr13
	s_and_saveexec_b64 s[0:1], vcc
	s_xor_b64 s[0:1], exec, s[0:1]
; %bb.209:                              ;   in Loop: Header=BB0_29 Depth=1
	v_and_b32_e32 v34, 0x1000000, v10
	v_cmp_eq_u64_e32 vcc, 0, v[34:35]
	v_cndmask_b32_e32 v13, v14, v15, vcc
	v_bfe_u32 v14, v10, 24, 1
	v_lshrrev_b64 v[10:11], v14, v[10:11]
; %bb.210:                              ;   in Loop: Header=BB0_29 Depth=1
	s_andn2_saveexec_b64 s[0:1], s[0:1]
; %bb.211:                              ;   in Loop: Header=BB0_29 Depth=1
	v_bfe_u32 v13, v10, 23, 1
; %bb.212:                              ;   in Loop: Header=BB0_29 Depth=1
	s_or_b64 exec, exec, s[0:1]
	v_lshrrev_b64 v[10:11], 20, v[10:11]
	v_cmp_gt_i32_e32 vcc, 16, v13
	v_cndmask_b32_e32 v11, 0, v11, vcc
	v_cndmask_b32_e32 v10, 7, v10, vcc
	v_cmp_ne_u32_e32 vcc, 0, v13
	v_cmp_ne_u64_e64 s[0:1], 0, v[10:11]
	s_or_b64 s[0:1], vcc, s[0:1]
                                        ; implicit-def: $vgpr11
	s_and_saveexec_b64 s[28:29], s[0:1]
	s_xor_b64 s[0:1], exec, s[28:29]
; %bb.213:                              ;   in Loop: Header=BB0_29 Depth=1
	v_min_i32_e32 v11, 15, v13
	v_lshl_or_b32 v11, v11, 3, v12
	v_and_or_b32 v11, v10, 7, v11
                                        ; implicit-def: $vgpr12
; %bb.214:                              ;   in Loop: Header=BB0_29 Depth=1
	s_andn2_saveexec_b64 s[0:1], s[0:1]
; %bb.215:                              ;   in Loop: Header=BB0_29 Depth=1
	v_mov_b32_e32 v11, v12
; %bb.216:                              ;   in Loop: Header=BB0_29 Depth=1
	s_or_b64 exec, exec, s[0:1]
.LBB0_217:                              ;   in Loop: Header=BB0_29 Depth=1
	s_or_b64 exec, exec, s[16:17]
.LBB0_218:                              ;   in Loop: Header=BB0_29 Depth=1
	s_andn2_saveexec_b64 s[0:1], s[14:15]
	s_or_b64 exec, exec, s[0:1]
                                        ; implicit-def: $vgpr10
.LBB0_219:                              ;   in Loop: Header=BB0_29 Depth=1
	s_andn2_saveexec_b64 s[0:1], s[12:13]
; %bb.220:                              ;   in Loop: Header=BB0_29 Depth=1
	v_or_b32_sdwa v10, v10, s26 dst_sel:DWORD dst_unused:UNUSED_PAD src0_sel:BYTE_3 src1_sel:DWORD
	v_cmp_eq_u64_e32 vcc, 0, v[34:35]
	v_cndmask_b32_e32 v11, v10, v11, vcc
; %bb.221:                              ;   in Loop: Header=BB0_29 Depth=1
	s_or_b64 exec, exec, s[0:1]
	v_mul_f32_e32 v2, v2, v1
	v_mul_f32_e32 v2, v2, v6
	;; [unrolled: 1-line block ×3, first 2 shown]
	v_add_u32_e32 v10, 11, v37
	v_min_f32_e32 v2, 0x43e00000, v2
	global_store_byte v10, v11, s[2:3]
	v_max_f32_e32 v10, 0xc3e00000, v2
	v_and_b32_sdwa v2, v10, s24 dst_sel:DWORD dst_unused:UNUSED_PAD src0_sel:BYTE_3 src1_sel:DWORD
	v_and_b32_e32 v12, 0x7f800000, v10
	v_mov_b32_e32 v13, v35
	v_and_b32_e32 v34, 0x7fffff, v10
	v_or_b32_e32 v6, 0x7e, v2
	v_cmp_ne_u64_e32 vcc, s[6:7], v[12:13]
	s_and_saveexec_b64 s[0:1], vcc
	s_xor_b64 s[12:13], exec, s[0:1]
	s_cbranch_execz .LBB0_235
; %bb.222:                              ;   in Loop: Header=BB0_29 Depth=1
	v_and_b32_e32 v12, 0x7fffffff, v10
	v_mov_b32_e32 v13, v35
	v_cmp_gt_u64_e32 vcc, s[10:11], v[12:13]
	s_and_saveexec_b64 s[0:1], vcc
	s_xor_b64 s[14:15], exec, s[0:1]
	s_cbranch_execz .LBB0_234
; %bb.223:                              ;   in Loop: Header=BB0_29 Depth=1
	v_cmp_ne_u32_e32 vcc, 0, v10
	v_mov_b32_e32 v6, 0
	s_and_saveexec_b64 s[16:17], vcc
	s_cbranch_execz .LBB0_233
; %bb.224:                              ;   in Loop: Header=BB0_29 Depth=1
	v_bfe_u32 v6, v10, 23, 8
	v_sub_u32_e64 v10, s25, v6 clamp
	v_cmp_eq_u32_e32 vcc, 0, v6
	v_add_u32_e32 v14, 0xffffff88, v6
	v_cndmask_b32_e32 v6, v10, v41, vcc
	v_or_b32_e32 v11, 0x800000, v34
	v_add_u32_e32 v10, 20, v6
	v_cndmask_b32_e32 v34, v11, v34, vcc
	v_lshlrev_b64 v[10:11], v10, -1
	v_not_b32_e32 v11, v11
	v_not_b32_e32 v10, v10
	v_add_u32_e32 v12, 19, v6
	v_and_b32_e32 v11, 0, v11
	v_and_b32_e32 v10, v34, v10
	v_lshlrev_b64 v[12:13], v12, 1
	v_cmp_eq_u64_e64 s[0:1], v[10:11], v[12:13]
	v_lshrrev_b64 v[10:11], v6, v[34:35]
	v_and_b32_e32 v34, 0x100000, v10
	v_cndmask_b32_e32 v12, v14, v42, vcc
	v_cmp_eq_u64_e32 vcc, 0, v[34:35]
	v_lshrrev_b32_e32 v13, 23, v10
	s_and_b64 vcc, vcc, s[0:1]
	v_add3_u32 v6, v12, v6, v13
	v_subbrev_co_u32_e32 v12, vcc, 0, v10, vcc
	v_and_b32_e32 v12, 0xfffff, v12
	v_add_co_u32_e32 v10, vcc, v12, v10
	v_add_u32_e32 v13, -1, v6
	v_addc_co_u32_e32 v11, vcc, 0, v11, vcc
	v_cmp_ne_u32_e32 vcc, 0, v13
                                        ; implicit-def: $vgpr12
	s_and_saveexec_b64 s[0:1], vcc
	s_xor_b64 s[0:1], exec, s[0:1]
; %bb.225:                              ;   in Loop: Header=BB0_29 Depth=1
	v_and_b32_e32 v34, 0x1000000, v10
	v_cmp_eq_u64_e32 vcc, 0, v[34:35]
	v_cndmask_b32_e32 v12, v6, v13, vcc
	v_bfe_u32 v6, v10, 24, 1
	v_lshrrev_b64 v[10:11], v6, v[10:11]
; %bb.226:                              ;   in Loop: Header=BB0_29 Depth=1
	s_andn2_saveexec_b64 s[0:1], s[0:1]
; %bb.227:                              ;   in Loop: Header=BB0_29 Depth=1
	v_bfe_u32 v12, v10, 23, 1
; %bb.228:                              ;   in Loop: Header=BB0_29 Depth=1
	s_or_b64 exec, exec, s[0:1]
	v_lshrrev_b64 v[10:11], 20, v[10:11]
	v_cmp_gt_i32_e32 vcc, 16, v12
	v_cndmask_b32_e32 v11, 0, v11, vcc
	v_cndmask_b32_e32 v10, 7, v10, vcc
	v_cmp_ne_u32_e32 vcc, 0, v12
	v_cmp_ne_u64_e64 s[0:1], 0, v[10:11]
	s_or_b64 s[0:1], vcc, s[0:1]
                                        ; implicit-def: $vgpr6
	s_and_saveexec_b64 s[28:29], s[0:1]
	s_xor_b64 s[0:1], exec, s[28:29]
; %bb.229:                              ;   in Loop: Header=BB0_29 Depth=1
	v_min_i32_e32 v6, 15, v12
	v_lshl_or_b32 v2, v6, 3, v2
	v_and_or_b32 v6, v10, 7, v2
                                        ; implicit-def: $vgpr2
; %bb.230:                              ;   in Loop: Header=BB0_29 Depth=1
	s_andn2_saveexec_b64 s[0:1], s[0:1]
; %bb.231:                              ;   in Loop: Header=BB0_29 Depth=1
	v_mov_b32_e32 v6, v2
; %bb.232:                              ;   in Loop: Header=BB0_29 Depth=1
	s_or_b64 exec, exec, s[0:1]
.LBB0_233:                              ;   in Loop: Header=BB0_29 Depth=1
	s_or_b64 exec, exec, s[16:17]
.LBB0_234:                              ;   in Loop: Header=BB0_29 Depth=1
	s_andn2_saveexec_b64 s[0:1], s[14:15]
	s_or_b64 exec, exec, s[0:1]
                                        ; implicit-def: $vgpr10
.LBB0_235:                              ;   in Loop: Header=BB0_29 Depth=1
	s_andn2_saveexec_b64 s[0:1], s[12:13]
; %bb.236:                              ;   in Loop: Header=BB0_29 Depth=1
	v_or_b32_sdwa v2, v10, s26 dst_sel:DWORD dst_unused:UNUSED_PAD src0_sel:BYTE_3 src1_sel:DWORD
	v_cmp_eq_u64_e32 vcc, 0, v[34:35]
	v_cndmask_b32_e32 v6, v2, v6, vcc
; %bb.237:                              ;   in Loop: Header=BB0_29 Depth=1
	s_or_b64 exec, exec, s[0:1]
	v_add_u32_e32 v2, 12, v37
	global_store_byte v2, v6, s[2:3]
	v_mul_f32_e32 v2, v3, v1
	v_mul_f32_e32 v2, v2, v7
	;; [unrolled: 1-line block ×3, first 2 shown]
	v_min_f32_e32 v2, 0x43e00000, v2
	v_max_f32_e32 v2, 0xc3e00000, v2
	v_and_b32_sdwa v6, v2, s24 dst_sel:DWORD dst_unused:UNUSED_PAD src0_sel:BYTE_3 src1_sel:DWORD
	v_and_b32_e32 v10, 0x7f800000, v2
	v_mov_b32_e32 v11, v35
	v_and_b32_e32 v34, 0x7fffff, v2
	v_or_b32_e32 v3, 0x7e, v6
	v_cmp_ne_u64_e32 vcc, s[6:7], v[10:11]
	s_and_saveexec_b64 s[0:1], vcc
	s_xor_b64 s[12:13], exec, s[0:1]
	s_cbranch_execz .LBB0_251
; %bb.238:                              ;   in Loop: Header=BB0_29 Depth=1
	v_and_b32_e32 v10, 0x7fffffff, v2
	v_mov_b32_e32 v11, v35
	v_cmp_gt_u64_e32 vcc, s[10:11], v[10:11]
	s_and_saveexec_b64 s[0:1], vcc
	s_xor_b64 s[14:15], exec, s[0:1]
	s_cbranch_execz .LBB0_250
; %bb.239:                              ;   in Loop: Header=BB0_29 Depth=1
	v_cmp_ne_u32_e32 vcc, 0, v2
	v_mov_b32_e32 v3, 0
	s_and_saveexec_b64 s[16:17], vcc
	s_cbranch_execz .LBB0_249
; %bb.240:                              ;   in Loop: Header=BB0_29 Depth=1
	v_bfe_u32 v2, v2, 23, 8
	v_sub_u32_e64 v3, s25, v2 clamp
	v_cmp_eq_u32_e32 vcc, 0, v2
	v_cndmask_b32_e32 v13, v3, v41, vcc
	v_add_u32_e32 v12, 0xffffff88, v2
	v_add_u32_e32 v2, 20, v13
	v_or_b32_e32 v7, 0x800000, v34
	v_lshlrev_b64 v[2:3], v2, -1
	v_cndmask_b32_e32 v34, v7, v34, vcc
	v_not_b32_e32 v3, v3
	v_not_b32_e32 v2, v2
	v_add_u32_e32 v7, 19, v13
	v_and_b32_e32 v3, 0, v3
	v_and_b32_e32 v2, v34, v2
	v_lshlrev_b64 v[10:11], v7, 1
	v_cmp_eq_u64_e64 s[0:1], v[2:3], v[10:11]
	v_lshrrev_b64 v[2:3], v13, v[34:35]
	v_and_b32_e32 v34, 0x100000, v2
	v_cndmask_b32_e32 v7, v12, v42, vcc
	v_cmp_eq_u64_e32 vcc, 0, v[34:35]
	v_lshrrev_b32_e32 v10, 23, v2
	s_and_b64 vcc, vcc, s[0:1]
	v_add3_u32 v10, v7, v13, v10
	v_subbrev_co_u32_e32 v7, vcc, 0, v2, vcc
	v_and_b32_e32 v7, 0xfffff, v7
	v_add_co_u32_e32 v2, vcc, v7, v2
	v_add_u32_e32 v11, -1, v10
	v_addc_co_u32_e32 v3, vcc, 0, v3, vcc
	v_cmp_ne_u32_e32 vcc, 0, v11
                                        ; implicit-def: $vgpr7
	s_and_saveexec_b64 s[0:1], vcc
	s_xor_b64 s[0:1], exec, s[0:1]
; %bb.241:                              ;   in Loop: Header=BB0_29 Depth=1
	v_and_b32_e32 v34, 0x1000000, v2
	v_cmp_eq_u64_e32 vcc, 0, v[34:35]
	v_cndmask_b32_e32 v7, v10, v11, vcc
	v_bfe_u32 v10, v2, 24, 1
	v_lshrrev_b64 v[2:3], v10, v[2:3]
; %bb.242:                              ;   in Loop: Header=BB0_29 Depth=1
	s_andn2_saveexec_b64 s[0:1], s[0:1]
; %bb.243:                              ;   in Loop: Header=BB0_29 Depth=1
	v_bfe_u32 v7, v2, 23, 1
; %bb.244:                              ;   in Loop: Header=BB0_29 Depth=1
	s_or_b64 exec, exec, s[0:1]
	v_lshrrev_b64 v[2:3], 20, v[2:3]
	v_cmp_gt_i32_e32 vcc, 16, v7
	v_cndmask_b32_e32 v3, 0, v3, vcc
	v_cndmask_b32_e32 v2, 7, v2, vcc
	v_cmp_ne_u32_e32 vcc, 0, v7
	v_cmp_ne_u64_e64 s[0:1], 0, v[2:3]
	s_or_b64 s[0:1], vcc, s[0:1]
                                        ; implicit-def: $vgpr3
	s_and_saveexec_b64 s[28:29], s[0:1]
	s_xor_b64 s[0:1], exec, s[28:29]
; %bb.245:                              ;   in Loop: Header=BB0_29 Depth=1
	v_min_i32_e32 v3, 15, v7
	v_lshl_or_b32 v3, v3, 3, v6
	v_and_or_b32 v3, v2, 7, v3
                                        ; implicit-def: $vgpr6
; %bb.246:                              ;   in Loop: Header=BB0_29 Depth=1
	s_andn2_saveexec_b64 s[0:1], s[0:1]
; %bb.247:                              ;   in Loop: Header=BB0_29 Depth=1
	v_mov_b32_e32 v3, v6
; %bb.248:                              ;   in Loop: Header=BB0_29 Depth=1
	s_or_b64 exec, exec, s[0:1]
.LBB0_249:                              ;   in Loop: Header=BB0_29 Depth=1
	s_or_b64 exec, exec, s[16:17]
.LBB0_250:                              ;   in Loop: Header=BB0_29 Depth=1
	s_andn2_saveexec_b64 s[0:1], s[14:15]
	s_or_b64 exec, exec, s[0:1]
                                        ; implicit-def: $vgpr2
.LBB0_251:                              ;   in Loop: Header=BB0_29 Depth=1
	s_andn2_saveexec_b64 s[0:1], s[12:13]
; %bb.252:                              ;   in Loop: Header=BB0_29 Depth=1
	v_or_b32_sdwa v2, v2, s26 dst_sel:DWORD dst_unused:UNUSED_PAD src0_sel:BYTE_3 src1_sel:DWORD
	v_cmp_eq_u64_e32 vcc, 0, v[34:35]
	v_cndmask_b32_e32 v3, v2, v3, vcc
; %bb.253:                              ;   in Loop: Header=BB0_29 Depth=1
	s_or_b64 exec, exec, s[0:1]
	v_add_u32_e32 v2, 13, v37
	global_store_byte v2, v3, s[2:3]
	v_mul_f32_e32 v2, v4, v1
	v_mul_f32_e32 v2, v2, v8
	v_mul_f32_e32 v2, v40, v2
	v_min_f32_e32 v2, 0x43e00000, v2
	v_max_f32_e32 v2, 0xc3e00000, v2
	v_and_b32_sdwa v4, v2, s24 dst_sel:DWORD dst_unused:UNUSED_PAD src0_sel:BYTE_3 src1_sel:DWORD
	v_and_b32_e32 v6, 0x7f800000, v2
	v_mov_b32_e32 v7, v35
	v_and_b32_e32 v34, 0x7fffff, v2
	v_or_b32_e32 v3, 0x7e, v4
	v_cmp_ne_u64_e32 vcc, s[6:7], v[6:7]
	s_and_saveexec_b64 s[0:1], vcc
	s_xor_b64 s[12:13], exec, s[0:1]
	s_cbranch_execz .LBB0_267
; %bb.254:                              ;   in Loop: Header=BB0_29 Depth=1
	v_and_b32_e32 v6, 0x7fffffff, v2
	v_mov_b32_e32 v7, v35
	v_cmp_gt_u64_e32 vcc, s[10:11], v[6:7]
	s_and_saveexec_b64 s[0:1], vcc
	s_xor_b64 s[14:15], exec, s[0:1]
	s_cbranch_execz .LBB0_266
; %bb.255:                              ;   in Loop: Header=BB0_29 Depth=1
	v_cmp_ne_u32_e32 vcc, 0, v2
	v_mov_b32_e32 v3, 0
	s_and_saveexec_b64 s[16:17], vcc
	s_cbranch_execz .LBB0_265
; %bb.256:                              ;   in Loop: Header=BB0_29 Depth=1
	v_bfe_u32 v2, v2, 23, 8
	v_sub_u32_e64 v3, s25, v2 clamp
	v_cmp_eq_u32_e32 vcc, 0, v2
	v_cndmask_b32_e32 v10, v3, v41, vcc
	v_add_u32_e32 v8, 0xffffff88, v2
	v_add_u32_e32 v2, 20, v10
	v_or_b32_e32 v6, 0x800000, v34
	v_lshlrev_b64 v[2:3], v2, -1
	v_cndmask_b32_e32 v34, v6, v34, vcc
	v_not_b32_e32 v3, v3
	v_not_b32_e32 v2, v2
	v_add_u32_e32 v6, 19, v10
	v_and_b32_e32 v3, 0, v3
	v_and_b32_e32 v2, v34, v2
	v_lshlrev_b64 v[6:7], v6, 1
	v_cmp_eq_u64_e64 s[0:1], v[2:3], v[6:7]
	v_lshrrev_b64 v[2:3], v10, v[34:35]
	v_and_b32_e32 v34, 0x100000, v2
	v_cndmask_b32_e32 v6, v8, v42, vcc
	v_cmp_eq_u64_e32 vcc, 0, v[34:35]
	v_lshrrev_b32_e32 v7, 23, v2
	s_and_b64 vcc, vcc, s[0:1]
	v_add3_u32 v7, v6, v10, v7
	v_subbrev_co_u32_e32 v6, vcc, 0, v2, vcc
	v_and_b32_e32 v6, 0xfffff, v6
	v_add_co_u32_e32 v2, vcc, v6, v2
	v_add_u32_e32 v8, -1, v7
	v_addc_co_u32_e32 v3, vcc, 0, v3, vcc
	v_cmp_ne_u32_e32 vcc, 0, v8
                                        ; implicit-def: $vgpr6
	s_and_saveexec_b64 s[0:1], vcc
	s_xor_b64 s[0:1], exec, s[0:1]
; %bb.257:                              ;   in Loop: Header=BB0_29 Depth=1
	v_and_b32_e32 v34, 0x1000000, v2
	v_cmp_eq_u64_e32 vcc, 0, v[34:35]
	v_cndmask_b32_e32 v6, v7, v8, vcc
	v_bfe_u32 v7, v2, 24, 1
	v_lshrrev_b64 v[2:3], v7, v[2:3]
; %bb.258:                              ;   in Loop: Header=BB0_29 Depth=1
	s_andn2_saveexec_b64 s[0:1], s[0:1]
; %bb.259:                              ;   in Loop: Header=BB0_29 Depth=1
	v_bfe_u32 v6, v2, 23, 1
; %bb.260:                              ;   in Loop: Header=BB0_29 Depth=1
	s_or_b64 exec, exec, s[0:1]
	v_lshrrev_b64 v[2:3], 20, v[2:3]
	v_cmp_gt_i32_e32 vcc, 16, v6
	v_cndmask_b32_e32 v3, 0, v3, vcc
	v_cndmask_b32_e32 v2, 7, v2, vcc
	v_cmp_ne_u32_e32 vcc, 0, v6
	v_cmp_ne_u64_e64 s[0:1], 0, v[2:3]
	s_or_b64 s[0:1], vcc, s[0:1]
                                        ; implicit-def: $vgpr3
	s_and_saveexec_b64 s[28:29], s[0:1]
	s_xor_b64 s[0:1], exec, s[28:29]
; %bb.261:                              ;   in Loop: Header=BB0_29 Depth=1
	v_min_i32_e32 v3, 15, v6
	v_lshl_or_b32 v3, v3, 3, v4
	v_and_or_b32 v3, v2, 7, v3
                                        ; implicit-def: $vgpr4
; %bb.262:                              ;   in Loop: Header=BB0_29 Depth=1
	s_andn2_saveexec_b64 s[0:1], s[0:1]
; %bb.263:                              ;   in Loop: Header=BB0_29 Depth=1
	v_mov_b32_e32 v3, v4
; %bb.264:                              ;   in Loop: Header=BB0_29 Depth=1
	s_or_b64 exec, exec, s[0:1]
.LBB0_265:                              ;   in Loop: Header=BB0_29 Depth=1
	s_or_b64 exec, exec, s[16:17]
.LBB0_266:                              ;   in Loop: Header=BB0_29 Depth=1
	s_andn2_saveexec_b64 s[0:1], s[14:15]
	s_or_b64 exec, exec, s[0:1]
                                        ; implicit-def: $vgpr2
.LBB0_267:                              ;   in Loop: Header=BB0_29 Depth=1
	s_andn2_saveexec_b64 s[0:1], s[12:13]
; %bb.268:                              ;   in Loop: Header=BB0_29 Depth=1
	v_or_b32_sdwa v2, v2, s26 dst_sel:DWORD dst_unused:UNUSED_PAD src0_sel:BYTE_3 src1_sel:DWORD
	v_cmp_eq_u64_e32 vcc, 0, v[34:35]
	v_cndmask_b32_e32 v3, v2, v3, vcc
; %bb.269:                              ;   in Loop: Header=BB0_29 Depth=1
	s_or_b64 exec, exec, s[0:1]
	v_add_u32_e32 v2, 14, v37
	global_store_byte v2, v3, s[2:3]
	v_mul_f32_e32 v2, v5, v1
	v_mul_f32_e32 v2, v2, v9
	v_mul_f32_e32 v2, v40, v2
	v_min_f32_e32 v2, 0x43e00000, v2
	v_max_f32_e32 v2, 0xc3e00000, v2
	v_and_b32_sdwa v4, v2, s24 dst_sel:DWORD dst_unused:UNUSED_PAD src0_sel:BYTE_3 src1_sel:DWORD
	v_and_b32_e32 v6, 0x7f800000, v2
	v_mov_b32_e32 v7, v35
	v_and_b32_e32 v34, 0x7fffff, v2
	v_or_b32_e32 v3, 0x7e, v4
	v_cmp_ne_u64_e32 vcc, s[6:7], v[6:7]
	s_and_saveexec_b64 s[0:1], vcc
	s_xor_b64 s[12:13], exec, s[0:1]
	s_cbranch_execz .LBB0_283
; %bb.270:                              ;   in Loop: Header=BB0_29 Depth=1
	v_and_b32_e32 v6, 0x7fffffff, v2
	v_mov_b32_e32 v7, v35
	v_cmp_gt_u64_e32 vcc, s[10:11], v[6:7]
	s_and_saveexec_b64 s[0:1], vcc
	s_xor_b64 s[14:15], exec, s[0:1]
	s_cbranch_execz .LBB0_282
; %bb.271:                              ;   in Loop: Header=BB0_29 Depth=1
	v_cmp_ne_u32_e32 vcc, 0, v2
	v_mov_b32_e32 v3, 0
	s_and_saveexec_b64 s[16:17], vcc
	s_cbranch_execz .LBB0_281
; %bb.272:                              ;   in Loop: Header=BB0_29 Depth=1
	v_bfe_u32 v2, v2, 23, 8
	v_sub_u32_e64 v3, s25, v2 clamp
	v_cmp_eq_u32_e32 vcc, 0, v2
	v_cndmask_b32_e32 v9, v3, v41, vcc
	v_add_u32_e32 v8, 0xffffff88, v2
	v_add_u32_e32 v2, 20, v9
	v_or_b32_e32 v5, 0x800000, v34
	v_lshlrev_b64 v[2:3], v2, -1
	v_cndmask_b32_e32 v34, v5, v34, vcc
	v_not_b32_e32 v3, v3
	v_not_b32_e32 v2, v2
	v_add_u32_e32 v5, 19, v9
	v_and_b32_e32 v3, 0, v3
	v_and_b32_e32 v2, v34, v2
	v_lshlrev_b64 v[6:7], v5, 1
	v_cmp_eq_u64_e64 s[0:1], v[2:3], v[6:7]
	v_lshrrev_b64 v[2:3], v9, v[34:35]
	v_and_b32_e32 v34, 0x100000, v2
	v_cndmask_b32_e32 v5, v8, v42, vcc
	v_cmp_eq_u64_e32 vcc, 0, v[34:35]
	v_lshrrev_b32_e32 v6, 23, v2
	s_and_b64 vcc, vcc, s[0:1]
	v_add3_u32 v6, v5, v9, v6
	v_subbrev_co_u32_e32 v5, vcc, 0, v2, vcc
	v_and_b32_e32 v5, 0xfffff, v5
	v_add_co_u32_e32 v2, vcc, v5, v2
	v_add_u32_e32 v7, -1, v6
	v_addc_co_u32_e32 v3, vcc, 0, v3, vcc
	v_cmp_ne_u32_e32 vcc, 0, v7
                                        ; implicit-def: $vgpr5
	s_and_saveexec_b64 s[0:1], vcc
	s_xor_b64 s[0:1], exec, s[0:1]
; %bb.273:                              ;   in Loop: Header=BB0_29 Depth=1
	v_and_b32_e32 v34, 0x1000000, v2
	v_cmp_eq_u64_e32 vcc, 0, v[34:35]
	v_cndmask_b32_e32 v5, v6, v7, vcc
	v_bfe_u32 v6, v2, 24, 1
	v_lshrrev_b64 v[2:3], v6, v[2:3]
; %bb.274:                              ;   in Loop: Header=BB0_29 Depth=1
	s_andn2_saveexec_b64 s[0:1], s[0:1]
; %bb.275:                              ;   in Loop: Header=BB0_29 Depth=1
	v_bfe_u32 v5, v2, 23, 1
; %bb.276:                              ;   in Loop: Header=BB0_29 Depth=1
	s_or_b64 exec, exec, s[0:1]
	v_lshrrev_b64 v[2:3], 20, v[2:3]
	v_cmp_gt_i32_e32 vcc, 16, v5
	v_cndmask_b32_e32 v3, 0, v3, vcc
	v_cndmask_b32_e32 v2, 7, v2, vcc
	v_cmp_ne_u32_e32 vcc, 0, v5
	v_cmp_ne_u64_e64 s[0:1], 0, v[2:3]
	s_or_b64 s[0:1], vcc, s[0:1]
                                        ; implicit-def: $vgpr3
	s_and_saveexec_b64 s[28:29], s[0:1]
	s_xor_b64 s[0:1], exec, s[28:29]
; %bb.277:                              ;   in Loop: Header=BB0_29 Depth=1
	v_min_i32_e32 v3, 15, v5
	v_lshl_or_b32 v3, v3, 3, v4
	v_and_or_b32 v3, v2, 7, v3
                                        ; implicit-def: $vgpr4
; %bb.278:                              ;   in Loop: Header=BB0_29 Depth=1
	s_andn2_saveexec_b64 s[0:1], s[0:1]
; %bb.279:                              ;   in Loop: Header=BB0_29 Depth=1
	v_mov_b32_e32 v3, v4
; %bb.280:                              ;   in Loop: Header=BB0_29 Depth=1
	s_or_b64 exec, exec, s[0:1]
.LBB0_281:                              ;   in Loop: Header=BB0_29 Depth=1
	s_or_b64 exec, exec, s[16:17]
.LBB0_282:                              ;   in Loop: Header=BB0_29 Depth=1
	s_andn2_saveexec_b64 s[0:1], s[14:15]
	s_or_b64 exec, exec, s[0:1]
                                        ; implicit-def: $vgpr2
.LBB0_283:                              ;   in Loop: Header=BB0_29 Depth=1
	s_andn2_saveexec_b64 s[0:1], s[12:13]
	s_cbranch_execz .LBB0_28
; %bb.284:                              ;   in Loop: Header=BB0_29 Depth=1
	v_or_b32_sdwa v2, v2, s26 dst_sel:DWORD dst_unused:UNUSED_PAD src0_sel:BYTE_3 src1_sel:DWORD
	v_cmp_eq_u64_e32 vcc, 0, v[34:35]
	v_cndmask_b32_e32 v3, v2, v3, vcc
	s_branch .LBB0_28
.LBB0_285:
	s_endpgm
	.section	.rodata,"a",@progbits
	.p2align	6, 0x0
	.amdhsa_kernel _ZN4vllm32rms_norm_static_fp8_quant_kernelIfN3c1013Float8_e4m3fnELi16EEEvPT0_PKT_iS7_PKffii
		.amdhsa_group_segment_fixed_size 68
		.amdhsa_private_segment_fixed_size 0
		.amdhsa_kernarg_size 312
		.amdhsa_user_sgpr_count 6
		.amdhsa_user_sgpr_private_segment_buffer 1
		.amdhsa_user_sgpr_dispatch_ptr 0
		.amdhsa_user_sgpr_queue_ptr 0
		.amdhsa_user_sgpr_kernarg_segment_ptr 1
		.amdhsa_user_sgpr_dispatch_id 0
		.amdhsa_user_sgpr_flat_scratch_init 0
		.amdhsa_user_sgpr_kernarg_preload_length 0
		.amdhsa_user_sgpr_kernarg_preload_offset 0
		.amdhsa_user_sgpr_private_segment_size 0
		.amdhsa_uses_dynamic_stack 0
		.amdhsa_system_sgpr_private_segment_wavefront_offset 0
		.amdhsa_system_sgpr_workgroup_id_x 1
		.amdhsa_system_sgpr_workgroup_id_y 0
		.amdhsa_system_sgpr_workgroup_id_z 0
		.amdhsa_system_sgpr_workgroup_info 0
		.amdhsa_system_vgpr_workitem_id 0
		.amdhsa_next_free_vgpr 46
		.amdhsa_next_free_sgpr 30
		.amdhsa_accum_offset 48
		.amdhsa_reserve_vcc 1
		.amdhsa_reserve_flat_scratch 0
		.amdhsa_float_round_mode_32 0
		.amdhsa_float_round_mode_16_64 0
		.amdhsa_float_denorm_mode_32 3
		.amdhsa_float_denorm_mode_16_64 3
		.amdhsa_dx10_clamp 1
		.amdhsa_ieee_mode 1
		.amdhsa_fp16_overflow 0
		.amdhsa_tg_split 0
		.amdhsa_exception_fp_ieee_invalid_op 0
		.amdhsa_exception_fp_denorm_src 0
		.amdhsa_exception_fp_ieee_div_zero 0
		.amdhsa_exception_fp_ieee_overflow 0
		.amdhsa_exception_fp_ieee_underflow 0
		.amdhsa_exception_fp_ieee_inexact 0
		.amdhsa_exception_int_div_zero 0
	.end_amdhsa_kernel
	.section	.text._ZN4vllm32rms_norm_static_fp8_quant_kernelIfN3c1013Float8_e4m3fnELi16EEEvPT0_PKT_iS7_PKffii,"axG",@progbits,_ZN4vllm32rms_norm_static_fp8_quant_kernelIfN3c1013Float8_e4m3fnELi16EEEvPT0_PKT_iS7_PKffii,comdat
.Lfunc_end0:
	.size	_ZN4vllm32rms_norm_static_fp8_quant_kernelIfN3c1013Float8_e4m3fnELi16EEEvPT0_PKT_iS7_PKffii, .Lfunc_end0-_ZN4vllm32rms_norm_static_fp8_quant_kernelIfN3c1013Float8_e4m3fnELi16EEEvPT0_PKT_iS7_PKffii
                                        ; -- End function
	.section	.AMDGPU.csdata,"",@progbits
; Kernel info:
; codeLenInByte = 9456
; NumSgprs: 34
; NumVgprs: 46
; NumAgprs: 0
; TotalNumVgprs: 46
; ScratchSize: 0
; MemoryBound: 1
; FloatMode: 240
; IeeeMode: 1
; LDSByteSize: 68 bytes/workgroup (compile time only)
; SGPRBlocks: 4
; VGPRBlocks: 5
; NumSGPRsForWavesPerEU: 34
; NumVGPRsForWavesPerEU: 46
; AccumOffset: 48
; Occupancy: 8
; WaveLimiterHint : 0
; COMPUTE_PGM_RSRC2:SCRATCH_EN: 0
; COMPUTE_PGM_RSRC2:USER_SGPR: 6
; COMPUTE_PGM_RSRC2:TRAP_HANDLER: 0
; COMPUTE_PGM_RSRC2:TGID_X_EN: 1
; COMPUTE_PGM_RSRC2:TGID_Y_EN: 0
; COMPUTE_PGM_RSRC2:TGID_Z_EN: 0
; COMPUTE_PGM_RSRC2:TIDIG_COMP_CNT: 0
; COMPUTE_PGM_RSRC3_GFX90A:ACCUM_OFFSET: 11
; COMPUTE_PGM_RSRC3_GFX90A:TG_SPLIT: 0
	.section	.text._ZN4vllm32rms_norm_static_fp8_quant_kernelIfN3c1013Float8_e4m3fnELi8EEEvPT0_PKT_iS7_PKffii,"axG",@progbits,_ZN4vllm32rms_norm_static_fp8_quant_kernelIfN3c1013Float8_e4m3fnELi8EEEvPT0_PKT_iS7_PKffii,comdat
	.protected	_ZN4vllm32rms_norm_static_fp8_quant_kernelIfN3c1013Float8_e4m3fnELi8EEEvPT0_PKT_iS7_PKffii ; -- Begin function _ZN4vllm32rms_norm_static_fp8_quant_kernelIfN3c1013Float8_e4m3fnELi8EEEvPT0_PKT_iS7_PKffii
	.globl	_ZN4vllm32rms_norm_static_fp8_quant_kernelIfN3c1013Float8_e4m3fnELi8EEEvPT0_PKT_iS7_PKffii
	.p2align	8
	.type	_ZN4vllm32rms_norm_static_fp8_quant_kernelIfN3c1013Float8_e4m3fnELi8EEEvPT0_PKT_iS7_PKffii,@function
_ZN4vllm32rms_norm_static_fp8_quant_kernelIfN3c1013Float8_e4m3fnELi8EEEvPT0_PKT_iS7_PKffii: ; @_ZN4vllm32rms_norm_static_fp8_quant_kernelIfN3c1013Float8_e4m3fnELi8EEEvPT0_PKT_iS7_PKffii
; %bb.0:
	s_load_dword s2, s[4:5], 0x10
	s_load_dwordx2 s[0:1], s[4:5], 0x8
	s_load_dword s7, s[4:5], 0x30
	s_load_dword s10, s[4:5], 0x44
	s_mov_b32 s9, 0
	s_waitcnt lgkmcnt(0)
	s_mul_i32 s8, s6, s2
	s_lshl_b64 s[2:3], s[8:9], 2
	s_add_u32 s18, s0, s2
	s_addc_u32 s19, s1, s3
	s_and_b32 s20, s10, 0xffff
	s_and_b32 s8, s18, 31
	s_cmp_lg_u64 s[8:9], 0
	s_cselect_b64 s[8:9], -1, 0
	s_and_b32 s10, s7, 7
	s_cmp_lg_u32 s10, 0
	s_cselect_b64 s[10:11], -1, 0
	s_or_b64 s[8:9], s[8:9], s[10:11]
	s_and_b64 vcc, exec, s[8:9]
	s_cbranch_vccz .LBB1_14
; %bb.1:
	s_sub_i32 s8, 0, s18
	s_bfe_u32 s8, s8, 0x30002
	s_min_i32 s8, s8, s7
	v_cmp_gt_i32_e32 vcc, s8, v0
	v_mov_b32_e32 v1, 0
	s_and_saveexec_b64 s[10:11], vcc
	s_cbranch_execz .LBB1_5
; %bb.2:
	s_add_u32 s9, s0, s2
	v_lshlrev_b32_e32 v1, 2, v0
	s_addc_u32 s12, s1, s3
	s_mov_b32 s14, 0
	v_mov_b32_e32 v3, s12
	v_add_co_u32_e32 v2, vcc, s9, v1
	v_addc_co_u32_e32 v3, vcc, 0, v3, vcc
	s_lshl_b32 s9, s20, 2
	s_mov_b64 s[12:13], 0
	v_mov_b32_e32 v1, 0
	v_mov_b32_e32 v4, s14
	;; [unrolled: 1-line block ×3, first 2 shown]
.LBB1_3:                                ; =>This Inner Loop Header: Depth=1
	global_load_dword v6, v[2:3], off
	v_add_co_u32_e32 v2, vcc, s9, v2
	v_add_u32_e32 v5, s20, v5
	v_addc_co_u32_e32 v3, vcc, v3, v4, vcc
	v_cmp_le_i32_e32 vcc, s8, v5
	s_or_b64 s[12:13], vcc, s[12:13]
	s_waitcnt vmcnt(0)
	v_fmac_f32_e32 v1, v6, v6
	s_andn2_b64 exec, exec, s[12:13]
	s_cbranch_execnz .LBB1_3
; %bb.4:
	s_or_b64 exec, exec, s[12:13]
.LBB1_5:
	s_or_b64 exec, exec, s[10:11]
	s_sub_i32 s14, s7, s8
	s_ashr_i32 s10, s14, 31
	s_lshr_b32 s10, s10, 29
	s_add_i32 s10, s14, s10
	s_ashr_i32 s15, s10, 3
	s_ashr_i32 s9, s8, 31
	v_cmp_gt_i32_e32 vcc, s15, v0
	s_and_saveexec_b64 s[10:11], vcc
	s_cbranch_execz .LBB1_9
; %bb.6:
	s_lshl_b64 s[12:13], s[8:9], 2
	s_add_u32 s16, s0, s2
	s_addc_u32 s21, s1, s3
	s_add_u32 s12, s16, s12
	v_lshlrev_b32_e32 v2, 5, v0
	s_addc_u32 s13, s21, s13
	s_mov_b32 s17, 0
	v_mov_b32_e32 v3, s13
	v_add_co_u32_e32 v2, vcc, s12, v2
	v_addc_co_u32_e32 v3, vcc, 0, v3, vcc
	s_lshl_b32 s16, s20, 5
	s_mov_b64 s[12:13], 0
	v_mov_b32_e32 v4, s17
	v_mov_b32_e32 v5, v0
.LBB1_7:                                ; =>This Inner Loop Header: Depth=1
	global_load_dwordx4 v[6:9], v[2:3], off
	global_load_dwordx4 v[10:13], v[2:3], off offset:16
	v_add_co_u32_e32 v2, vcc, s16, v2
	v_add_u32_e32 v5, s20, v5
	v_addc_co_u32_e32 v3, vcc, v3, v4, vcc
	v_cmp_le_i32_e32 vcc, s15, v5
	s_or_b64 s[12:13], vcc, s[12:13]
	s_waitcnt vmcnt(1)
	v_fmac_f32_e32 v1, v6, v6
	v_fmac_f32_e32 v1, v7, v7
	;; [unrolled: 1-line block ×4, first 2 shown]
	s_waitcnt vmcnt(0)
	v_fmac_f32_e32 v1, v10, v10
	v_fmac_f32_e32 v1, v11, v11
	;; [unrolled: 1-line block ×4, first 2 shown]
	s_andn2_b64 exec, exec, s[12:13]
	s_cbranch_execnz .LBB1_7
; %bb.8:
	s_or_b64 exec, exec, s[12:13]
.LBB1_9:
	s_or_b64 exec, exec, s[10:11]
	v_lshl_add_u32 v2, s15, 3, v0
	v_cmp_gt_i32_e32 vcc, s14, v2
	s_and_saveexec_b64 s[10:11], vcc
	s_cbranch_execz .LBB1_13
; %bb.10:
	s_lshl_b64 s[8:9], s[8:9], 2
	s_add_u32 s12, s0, s2
	s_addc_u32 s13, s1, s3
	v_ashrrev_i32_e32 v3, 31, v2
	s_add_u32 s8, s12, s8
	v_lshlrev_b64 v[4:5], 2, v[2:3]
	s_addc_u32 s9, s13, s9
	v_mov_b32_e32 v3, s9
	v_add_co_u32_e32 v4, vcc, s8, v4
	s_mov_b32 s13, 0
	v_addc_co_u32_e32 v5, vcc, v3, v5, vcc
	s_lshl_b32 s12, s20, 2
	s_mov_b64 s[8:9], 0
	v_mov_b32_e32 v3, s13
.LBB1_11:                               ; =>This Inner Loop Header: Depth=1
	global_load_dword v6, v[4:5], off
	v_add_co_u32_e32 v4, vcc, s12, v4
	v_add_u32_e32 v2, s20, v2
	v_addc_co_u32_e32 v5, vcc, v5, v3, vcc
	v_cmp_le_i32_e32 vcc, s14, v2
	s_or_b64 s[8:9], vcc, s[8:9]
	s_waitcnt vmcnt(0)
	v_fmac_f32_e32 v1, v6, v6
	s_andn2_b64 exec, exec, s[8:9]
	s_cbranch_execnz .LBB1_11
; %bb.12:
	s_or_b64 exec, exec, s[8:9]
.LBB1_13:
	s_or_b64 exec, exec, s[10:11]
	s_branch .LBB1_20
.LBB1_14:
                                        ; implicit-def: $vgpr1
	s_cbranch_execz .LBB1_20
; %bb.15:
	s_ashr_i32 s10, s7, 3
	v_cmp_gt_i32_e32 vcc, s10, v0
	v_mov_b32_e32 v1, 0
	s_and_saveexec_b64 s[8:9], vcc
	s_cbranch_execz .LBB1_19
; %bb.16:
	s_add_u32 s0, s0, s2
	v_lshlrev_b32_e32 v1, 5, v0
	s_addc_u32 s1, s1, s3
	s_mov_b32 s11, 0
	v_mov_b32_e32 v3, s1
	v_add_co_u32_e32 v2, vcc, s0, v1
	v_addc_co_u32_e32 v3, vcc, 0, v3, vcc
	s_lshl_b32 s2, s20, 5
	s_mov_b64 s[0:1], 0
	v_mov_b32_e32 v1, 0
	v_mov_b32_e32 v4, s11
	;; [unrolled: 1-line block ×3, first 2 shown]
.LBB1_17:                               ; =>This Inner Loop Header: Depth=1
	global_load_dwordx4 v[6:9], v[2:3], off
	global_load_dwordx4 v[10:13], v[2:3], off offset:16
	v_add_co_u32_e32 v2, vcc, s2, v2
	v_add_u32_e32 v5, s20, v5
	v_addc_co_u32_e32 v3, vcc, v3, v4, vcc
	v_cmp_le_i32_e32 vcc, s10, v5
	s_or_b64 s[0:1], vcc, s[0:1]
	s_waitcnt vmcnt(1)
	v_fmac_f32_e32 v1, v6, v6
	v_fmac_f32_e32 v1, v7, v7
	;; [unrolled: 1-line block ×4, first 2 shown]
	s_waitcnt vmcnt(0)
	v_fmac_f32_e32 v1, v10, v10
	v_fmac_f32_e32 v1, v11, v11
	;; [unrolled: 1-line block ×4, first 2 shown]
	s_andn2_b64 exec, exec, s[0:1]
	s_cbranch_execnz .LBB1_17
; %bb.18:
	s_or_b64 exec, exec, s[0:1]
.LBB1_19:
	s_or_b64 exec, exec, s[8:9]
.LBB1_20:
	v_mbcnt_lo_u32_b32 v2, -1, 0
	v_mbcnt_hi_u32_b32 v2, -1, v2
	v_and_b32_e32 v3, 63, v2
	v_cmp_ne_u32_e32 vcc, 63, v3
	v_addc_co_u32_e32 v4, vcc, 0, v2, vcc
	v_lshlrev_b32_e32 v4, 2, v4
	ds_bpermute_b32 v4, v4, v1
	v_and_b32_e32 v5, 0x3c0, v0
	v_sub_u32_e64 v5, s20, v5 clamp
	v_add_u32_e32 v6, 1, v2
	v_cmp_lt_u32_e32 vcc, v6, v5
	s_waitcnt lgkmcnt(0)
	v_add_f32_e32 v4, v1, v4
	v_cndmask_b32_e32 v1, v1, v4, vcc
	v_cmp_gt_u32_e32 vcc, 62, v3
	v_cndmask_b32_e64 v4, 0, 1, vcc
	v_lshlrev_b32_e32 v4, 1, v4
	v_add_lshl_u32 v4, v4, v2, 2
	ds_bpermute_b32 v4, v4, v1
	v_add_u32_e32 v6, 2, v2
	v_cmp_lt_u32_e32 vcc, v6, v5
	v_add_u32_e32 v6, 4, v2
	s_waitcnt lgkmcnt(0)
	v_add_f32_e32 v4, v1, v4
	v_cndmask_b32_e32 v1, v1, v4, vcc
	v_cmp_gt_u32_e32 vcc, 60, v3
	v_cndmask_b32_e64 v4, 0, 1, vcc
	v_lshlrev_b32_e32 v4, 2, v4
	v_add_lshl_u32 v4, v4, v2, 2
	ds_bpermute_b32 v4, v4, v1
	v_cmp_lt_u32_e32 vcc, v6, v5
	v_add_u32_e32 v6, 8, v2
	s_waitcnt lgkmcnt(0)
	v_add_f32_e32 v4, v1, v4
	v_cndmask_b32_e32 v1, v1, v4, vcc
	v_cmp_gt_u32_e32 vcc, 56, v3
	v_cndmask_b32_e64 v4, 0, 1, vcc
	v_lshlrev_b32_e32 v4, 3, v4
	v_add_lshl_u32 v4, v4, v2, 2
	ds_bpermute_b32 v4, v4, v1
	;; [unrolled: 10-line block ×3, first 2 shown]
	v_cmp_lt_u32_e32 vcc, v6, v5
	s_waitcnt lgkmcnt(0)
	v_add_f32_e32 v4, v1, v4
	v_cndmask_b32_e32 v1, v1, v4, vcc
	v_cmp_gt_u32_e32 vcc, 32, v3
	v_cndmask_b32_e64 v3, 0, 1, vcc
	v_lshlrev_b32_e32 v3, 5, v3
	v_add_lshl_u32 v3, v3, v2, 2
	ds_bpermute_b32 v3, v3, v1
	v_add_u32_e32 v4, 32, v2
	v_cmp_lt_u32_e32 vcc, v4, v5
	s_waitcnt lgkmcnt(0)
	v_add_f32_e32 v3, v1, v3
	v_cndmask_b32_e32 v1, v1, v3, vcc
	v_cmp_eq_u32_e32 vcc, 0, v2
	s_and_saveexec_b64 s[0:1], vcc
	s_cbranch_execz .LBB1_22
; %bb.21:
	v_lshrrev_b32_e32 v3, 4, v0
	v_and_b32_e32 v3, 60, v3
	ds_write_b32 v3, v1
.LBB1_22:
	s_or_b64 exec, exec, s[0:1]
	v_cmp_gt_u32_e32 vcc, 16, v0
	s_waitcnt lgkmcnt(0)
	s_barrier
	s_and_saveexec_b64 s[2:3], vcc
	s_cbranch_execz .LBB1_24
; %bb.23:
	v_lshlrev_b32_e32 v1, 2, v2
	ds_read_b32 v1, v1
	v_and_b32_e32 v3, 15, v2
	v_cmp_ne_u32_e32 vcc, 15, v3
	v_addc_co_u32_e32 v4, vcc, 0, v2, vcc
	v_lshlrev_b32_e32 v4, 2, v4
	s_waitcnt lgkmcnt(0)
	ds_bpermute_b32 v4, v4, v1
	s_add_i32 s0, s20, 63
	s_lshr_b32 s8, s0, 6
	v_add_u32_e32 v5, 1, v3
	v_cmp_gt_u32_e64 s[0:1], 14, v3
	v_cmp_gt_u32_e32 vcc, s8, v5
	v_cndmask_b32_e64 v5, 0, 1, s[0:1]
	s_waitcnt lgkmcnt(0)
	v_add_f32_e32 v4, v1, v4
	v_lshlrev_b32_e32 v5, 1, v5
	v_cndmask_b32_e32 v4, v1, v4, vcc
	v_add_lshl_u32 v5, v5, v2, 2
	ds_bpermute_b32 v5, v5, v4
	v_add_u32_e32 v6, 2, v3
	v_cmp_gt_u32_e64 s[0:1], s8, v6
	v_add_u32_e32 v6, 4, v3
	s_waitcnt lgkmcnt(0)
	v_add_f32_e32 v5, v4, v5
	v_cndmask_b32_e64 v4, v4, v5, s[0:1]
	v_cmp_gt_u32_e64 s[0:1], 12, v3
	v_cndmask_b32_e64 v5, 0, 1, s[0:1]
	v_lshlrev_b32_e32 v5, 2, v5
	v_add_lshl_u32 v5, v5, v2, 2
	ds_bpermute_b32 v5, v5, v4
	v_cmp_gt_u32_e64 s[0:1], s8, v6
	s_waitcnt lgkmcnt(0)
	v_add_f32_e32 v5, v4, v5
	v_cndmask_b32_e64 v4, v4, v5, s[0:1]
	v_cmp_gt_u32_e64 s[0:1], 8, v3
	v_cndmask_b32_e64 v5, 0, 1, s[0:1]
	v_lshlrev_b32_e32 v5, 3, v5
	v_add_lshl_u32 v2, v5, v2, 2
	ds_bpermute_b32 v2, v2, v4
	v_add_u32_e32 v3, 8, v3
	v_cmp_gt_u32_e64 s[0:1], s8, v3
	s_waitcnt lgkmcnt(0)
	v_add_f32_e32 v2, v4, v2
	v_cndmask_b32_e64 v2, v4, v2, s[0:1]
	v_cndmask_b32_e32 v1, v1, v2, vcc
.LBB1_24:
	s_or_b64 exec, exec, s[2:3]
	v_cmp_eq_u32_e32 vcc, 0, v0
	s_and_saveexec_b64 s[0:1], vcc
	s_cbranch_execz .LBB1_26
; %bb.25:
	v_cvt_f32_i32_e32 v2, s7
	s_load_dword s8, s[4:5], 0x28
	v_div_scale_f32 v3, s[2:3], v2, v2, v1
	v_rcp_f32_e32 v4, v3
	v_div_scale_f32 v5, vcc, v1, v2, v1
	s_mov_b32 s2, 0x800000
	v_fma_f32 v6, -v3, v4, 1.0
	v_fmac_f32_e32 v4, v6, v4
	v_mul_f32_e32 v6, v5, v4
	v_fma_f32 v7, -v3, v6, v5
	v_fmac_f32_e32 v6, v7, v4
	v_fma_f32 v3, -v3, v6, v5
	v_div_fmas_f32 v3, v3, v4, v6
	v_div_fixup_f32 v1, v3, v2, v1
	s_waitcnt lgkmcnt(0)
	v_add_f32_e32 v1, s8, v1
	v_mul_f32_e32 v2, 0x4b800000, v1
	v_cmp_gt_f32_e32 vcc, s2, v1
	v_cndmask_b32_e32 v1, v1, v2, vcc
	v_rsq_f32_e32 v1, v1
	v_mul_f32_e32 v2, 0x45800000, v1
	v_cndmask_b32_e32 v1, v1, v2, vcc
	v_mov_b32_e32 v2, 0
	ds_write_b32 v2, v1 offset:64
.LBB1_26:
	s_or_b64 exec, exec, s[0:1]
	s_ashr_i32 s0, s7, 31
	s_lshr_b32 s0, s0, 29
	s_add_i32 s0, s7, s0
	s_ashr_i32 s21, s0, 3
	v_cmp_gt_i32_e32 vcc, s21, v0
	s_waitcnt lgkmcnt(0)
	s_barrier
	s_and_saveexec_b64 s[0:1], vcc
	s_cbranch_execz .LBB1_157
; %bb.27:
	s_load_dwordx4 s[8:11], s[4:5], 0x18
	s_load_dwordx2 s[2:3], s[4:5], 0x0
	v_mov_b32_e32 v19, 0
	ds_read_b32 v1, v19 offset:64
	s_mul_i32 s6, s6, s7
	s_waitcnt lgkmcnt(0)
	s_load_dword s4, s[10:11], 0x0
	s_lshl_b32 s22, s20, 3
	v_lshlrev_b32_e32 v20, 5, v0
	v_lshl_add_u32 v21, v0, 3, s6
	s_lshl_b32 s23, s20, 5
	s_waitcnt lgkmcnt(0)
	v_div_scale_f32 v2, s[0:1], s4, s4, 1.0
	v_rcp_f32_e32 v3, v2
	v_div_scale_f32 v4, vcc, 1.0, s4, 1.0
	s_movk_i32 s24, 0x80
	v_fma_f32 v5, -v2, v3, 1.0
	v_fmac_f32_e32 v3, v5, v3
	v_mul_f32_e32 v5, v4, v3
	v_fma_f32 v6, -v2, v5, v4
	v_fmac_f32_e32 v5, v6, v3
	v_fma_f32 v2, -v2, v5, v4
	v_div_fmas_f32 v2, v2, v3, v5
	v_div_fixup_f32 v24, v2, s4, 1.0
	s_mov_b64 s[4:5], 0
	s_mov_b64 s[6:7], 0x7f800000
	;; [unrolled: 1-line block ×3, first 2 shown]
	s_movk_i32 s25, 0x79
	s_movk_i32 s26, 0x7f
	v_mov_b32_e32 v25, 0x78
	v_mov_b32_e32 v26, 0xffffff89
	s_branch .LBB1_29
.LBB1_28:                               ;   in Loop: Header=BB1_29 Depth=1
	s_or_b64 exec, exec, s[0:1]
	s_add_u32 s8, s8, s23
	s_addc_u32 s9, s9, 0
	v_add_u32_e32 v0, s20, v0
	s_add_u32 s18, s18, s23
	s_addc_u32 s19, s19, 0
	v_cmp_le_i32_e32 vcc, s21, v0
	v_add_u32_e32 v2, 7, v21
	s_or_b64 s[4:5], vcc, s[4:5]
	v_add_u32_e32 v21, s22, v21
	global_store_byte v2, v3, s[2:3]
	s_andn2_b64 exec, exec, s[4:5]
	s_cbranch_execz .LBB1_157
.LBB1_29:                               ; =>This Inner Loop Header: Depth=1
	v_mov_b32_e32 v2, s19
	v_add_co_u32_e32 v22, vcc, s18, v20
	v_addc_co_u32_e32 v23, vcc, 0, v2, vcc
	global_load_dwordx4 v[10:13], v[22:23], off
	v_mov_b32_e32 v2, s9
	v_add_co_u32_e32 v28, vcc, s8, v20
	v_addc_co_u32_e32 v29, vcc, 0, v2, vcc
	global_load_dwordx4 v[14:17], v[28:29], off
	global_load_dwordx4 v[2:5], v[22:23], off offset:16
	global_load_dwordx4 v[6:9], v[28:29], off offset:16
	v_mov_b32_e32 v29, v19
	s_waitcnt vmcnt(3)
	v_mul_f32_e32 v10, v10, v1
	s_waitcnt vmcnt(2)
	v_mul_f32_e32 v10, v10, v14
	v_mul_f32_e32 v10, v24, v10
	v_min_f32_e32 v10, 0x43e00000, v10
	v_max_f32_e32 v22, 0xc3e00000, v10
	v_and_b32_sdwa v10, v22, s24 dst_sel:DWORD dst_unused:UNUSED_PAD src0_sel:BYTE_3 src1_sel:DWORD
	v_and_b32_e32 v28, 0x7f800000, v22
	v_and_b32_e32 v18, 0x7fffff, v22
	v_or_b32_e32 v14, 0x7e, v10
	v_cmp_ne_u64_e32 vcc, s[6:7], v[28:29]
	s_and_saveexec_b64 s[0:1], vcc
	s_xor_b64 s[12:13], exec, s[0:1]
	s_cbranch_execz .LBB1_43
; %bb.30:                               ;   in Loop: Header=BB1_29 Depth=1
	v_and_b32_e32 v28, 0x7fffffff, v22
	v_mov_b32_e32 v29, v19
	v_cmp_gt_u64_e32 vcc, s[10:11], v[28:29]
	s_and_saveexec_b64 s[0:1], vcc
	s_xor_b64 s[14:15], exec, s[0:1]
	s_cbranch_execz .LBB1_42
; %bb.31:                               ;   in Loop: Header=BB1_29 Depth=1
	v_cmp_ne_u32_e32 vcc, 0, v22
	v_mov_b32_e32 v14, 0
	s_and_saveexec_b64 s[16:17], vcc
	s_cbranch_execz .LBB1_41
; %bb.32:                               ;   in Loop: Header=BB1_29 Depth=1
	v_bfe_u32 v14, v22, 23, 8
	v_sub_u32_e64 v22, s25, v14 clamp
	v_cmp_eq_u32_e32 vcc, 0, v14
	v_add_u32_e32 v27, 0xffffff88, v14
	v_cndmask_b32_e32 v14, v22, v25, vcc
	v_or_b32_e32 v23, 0x800000, v18
	v_add_u32_e32 v22, 20, v14
	v_cndmask_b32_e32 v18, v23, v18, vcc
	v_lshlrev_b64 v[22:23], v22, -1
	v_not_b32_e32 v23, v23
	v_not_b32_e32 v22, v22
	v_add_u32_e32 v28, 19, v14
	v_and_b32_e32 v23, 0, v23
	v_and_b32_e32 v22, v18, v22
	v_lshlrev_b64 v[28:29], v28, 1
	v_cmp_eq_u64_e64 s[0:1], v[22:23], v[28:29]
	v_lshrrev_b64 v[22:23], v14, v[18:19]
	v_cndmask_b32_e32 v18, v27, v26, vcc
	v_lshrrev_b32_e32 v27, 23, v22
	v_add3_u32 v14, v18, v14, v27
	v_and_b32_e32 v18, 0x100000, v22
	v_cmp_eq_u64_e32 vcc, 0, v[18:19]
	s_and_b64 vcc, vcc, s[0:1]
	v_subbrev_co_u32_e32 v18, vcc, 0, v22, vcc
	v_and_b32_e32 v18, 0xfffff, v18
	v_add_co_u32_e32 v22, vcc, v18, v22
	v_add_u32_e32 v27, -1, v14
	v_addc_co_u32_e32 v23, vcc, 0, v23, vcc
	v_cmp_ne_u32_e32 vcc, 0, v27
                                        ; implicit-def: $vgpr18
	s_and_saveexec_b64 s[0:1], vcc
	s_xor_b64 s[0:1], exec, s[0:1]
; %bb.33:                               ;   in Loop: Header=BB1_29 Depth=1
	v_and_b32_e32 v18, 0x1000000, v22
	v_cmp_eq_u64_e32 vcc, 0, v[18:19]
	v_cndmask_b32_e32 v18, v14, v27, vcc
	v_bfe_u32 v14, v22, 24, 1
	v_lshrrev_b64 v[22:23], v14, v[22:23]
; %bb.34:                               ;   in Loop: Header=BB1_29 Depth=1
	s_andn2_saveexec_b64 s[0:1], s[0:1]
; %bb.35:                               ;   in Loop: Header=BB1_29 Depth=1
	v_bfe_u32 v18, v22, 23, 1
; %bb.36:                               ;   in Loop: Header=BB1_29 Depth=1
	s_or_b64 exec, exec, s[0:1]
	v_lshrrev_b64 v[22:23], 20, v[22:23]
	v_cmp_gt_i32_e32 vcc, 16, v18
	v_cndmask_b32_e32 v23, 0, v23, vcc
	v_cndmask_b32_e32 v22, 7, v22, vcc
	v_cmp_ne_u32_e32 vcc, 0, v18
	v_cmp_ne_u64_e64 s[0:1], 0, v[22:23]
	s_or_b64 s[0:1], vcc, s[0:1]
                                        ; implicit-def: $vgpr14
	s_and_saveexec_b64 s[28:29], s[0:1]
	s_xor_b64 s[0:1], exec, s[28:29]
; %bb.37:                               ;   in Loop: Header=BB1_29 Depth=1
	v_min_i32_e32 v14, 15, v18
	v_lshl_or_b32 v10, v14, 3, v10
	v_and_or_b32 v14, v22, 7, v10
                                        ; implicit-def: $vgpr10
; %bb.38:                               ;   in Loop: Header=BB1_29 Depth=1
	s_andn2_saveexec_b64 s[0:1], s[0:1]
; %bb.39:                               ;   in Loop: Header=BB1_29 Depth=1
	v_mov_b32_e32 v14, v10
; %bb.40:                               ;   in Loop: Header=BB1_29 Depth=1
	s_or_b64 exec, exec, s[0:1]
.LBB1_41:                               ;   in Loop: Header=BB1_29 Depth=1
	s_or_b64 exec, exec, s[16:17]
.LBB1_42:                               ;   in Loop: Header=BB1_29 Depth=1
	s_andn2_saveexec_b64 s[0:1], s[14:15]
	s_or_b64 exec, exec, s[0:1]
                                        ; implicit-def: $vgpr22
.LBB1_43:                               ;   in Loop: Header=BB1_29 Depth=1
	s_andn2_saveexec_b64 s[0:1], s[12:13]
; %bb.44:                               ;   in Loop: Header=BB1_29 Depth=1
	v_or_b32_sdwa v10, v22, s26 dst_sel:DWORD dst_unused:UNUSED_PAD src0_sel:BYTE_3 src1_sel:DWORD
	v_cmp_eq_u64_e32 vcc, 0, v[18:19]
	v_cndmask_b32_e32 v14, v10, v14, vcc
; %bb.45:                               ;   in Loop: Header=BB1_29 Depth=1
	s_or_b64 exec, exec, s[0:1]
	v_mul_f32_e32 v10, v11, v1
	v_mul_f32_e32 v10, v10, v15
	;; [unrolled: 1-line block ×3, first 2 shown]
	v_min_f32_e32 v10, 0x43e00000, v10
	v_max_f32_e32 v10, 0xc3e00000, v10
	global_store_byte v21, v14, s[2:3]
	v_and_b32_sdwa v14, v10, s24 dst_sel:DWORD dst_unused:UNUSED_PAD src0_sel:BYTE_3 src1_sel:DWORD
	v_and_b32_e32 v22, 0x7f800000, v10
	v_mov_b32_e32 v23, v19
	v_and_b32_e32 v18, 0x7fffff, v10
	v_or_b32_e32 v11, 0x7e, v14
	v_cmp_ne_u64_e32 vcc, s[6:7], v[22:23]
	s_and_saveexec_b64 s[0:1], vcc
	s_xor_b64 s[12:13], exec, s[0:1]
	s_cbranch_execz .LBB1_59
; %bb.46:                               ;   in Loop: Header=BB1_29 Depth=1
	v_and_b32_e32 v22, 0x7fffffff, v10
	v_mov_b32_e32 v23, v19
	v_cmp_gt_u64_e32 vcc, s[10:11], v[22:23]
	s_and_saveexec_b64 s[0:1], vcc
	s_xor_b64 s[14:15], exec, s[0:1]
	s_cbranch_execz .LBB1_58
; %bb.47:                               ;   in Loop: Header=BB1_29 Depth=1
	v_cmp_ne_u32_e32 vcc, 0, v10
	v_mov_b32_e32 v11, 0
	s_and_saveexec_b64 s[16:17], vcc
	s_cbranch_execz .LBB1_57
; %bb.48:                               ;   in Loop: Header=BB1_29 Depth=1
	v_bfe_u32 v10, v10, 23, 8
	v_sub_u32_e64 v11, s25, v10 clamp
	v_cmp_eq_u32_e32 vcc, 0, v10
	v_cndmask_b32_e32 v28, v11, v25, vcc
	v_add_u32_e32 v27, 0xffffff88, v10
	v_add_u32_e32 v10, 20, v28
	v_or_b32_e32 v15, 0x800000, v18
	v_lshlrev_b64 v[10:11], v10, -1
	v_cndmask_b32_e32 v18, v15, v18, vcc
	v_not_b32_e32 v11, v11
	v_not_b32_e32 v10, v10
	v_add_u32_e32 v15, 19, v28
	v_and_b32_e32 v11, 0, v11
	v_and_b32_e32 v10, v18, v10
	v_lshlrev_b64 v[22:23], v15, 1
	v_cmp_eq_u64_e64 s[0:1], v[10:11], v[22:23]
	v_lshrrev_b64 v[10:11], v28, v[18:19]
	v_cndmask_b32_e32 v15, v27, v26, vcc
	v_lshrrev_b32_e32 v18, 23, v10
	v_add3_u32 v22, v15, v28, v18
	v_and_b32_e32 v18, 0x100000, v10
	v_cmp_eq_u64_e32 vcc, 0, v[18:19]
	s_and_b64 vcc, vcc, s[0:1]
	v_subbrev_co_u32_e32 v15, vcc, 0, v10, vcc
	v_and_b32_e32 v15, 0xfffff, v15
	v_add_co_u32_e32 v10, vcc, v15, v10
	v_add_u32_e32 v23, -1, v22
	v_addc_co_u32_e32 v11, vcc, 0, v11, vcc
	v_cmp_ne_u32_e32 vcc, 0, v23
                                        ; implicit-def: $vgpr15
	s_and_saveexec_b64 s[0:1], vcc
	s_xor_b64 s[0:1], exec, s[0:1]
; %bb.49:                               ;   in Loop: Header=BB1_29 Depth=1
	v_and_b32_e32 v18, 0x1000000, v10
	v_cmp_eq_u64_e32 vcc, 0, v[18:19]
	v_bfe_u32 v18, v10, 24, 1
	v_cndmask_b32_e32 v15, v22, v23, vcc
	v_lshrrev_b64 v[10:11], v18, v[10:11]
; %bb.50:                               ;   in Loop: Header=BB1_29 Depth=1
	s_andn2_saveexec_b64 s[0:1], s[0:1]
; %bb.51:                               ;   in Loop: Header=BB1_29 Depth=1
	v_bfe_u32 v15, v10, 23, 1
; %bb.52:                               ;   in Loop: Header=BB1_29 Depth=1
	s_or_b64 exec, exec, s[0:1]
	v_lshrrev_b64 v[10:11], 20, v[10:11]
	v_cmp_gt_i32_e32 vcc, 16, v15
	v_cndmask_b32_e32 v11, 0, v11, vcc
	v_cndmask_b32_e32 v10, 7, v10, vcc
	v_cmp_ne_u32_e32 vcc, 0, v15
	v_cmp_ne_u64_e64 s[0:1], 0, v[10:11]
	s_or_b64 s[0:1], vcc, s[0:1]
                                        ; implicit-def: $vgpr11
	s_and_saveexec_b64 s[28:29], s[0:1]
	s_xor_b64 s[0:1], exec, s[28:29]
; %bb.53:                               ;   in Loop: Header=BB1_29 Depth=1
	v_min_i32_e32 v11, 15, v15
	v_lshl_or_b32 v11, v11, 3, v14
	v_and_or_b32 v11, v10, 7, v11
                                        ; implicit-def: $vgpr14
; %bb.54:                               ;   in Loop: Header=BB1_29 Depth=1
	s_andn2_saveexec_b64 s[0:1], s[0:1]
; %bb.55:                               ;   in Loop: Header=BB1_29 Depth=1
	v_mov_b32_e32 v11, v14
; %bb.56:                               ;   in Loop: Header=BB1_29 Depth=1
	s_or_b64 exec, exec, s[0:1]
.LBB1_57:                               ;   in Loop: Header=BB1_29 Depth=1
	s_or_b64 exec, exec, s[16:17]
.LBB1_58:                               ;   in Loop: Header=BB1_29 Depth=1
	s_andn2_saveexec_b64 s[0:1], s[14:15]
	s_or_b64 exec, exec, s[0:1]
                                        ; implicit-def: $vgpr10
.LBB1_59:                               ;   in Loop: Header=BB1_29 Depth=1
	s_andn2_saveexec_b64 s[0:1], s[12:13]
; %bb.60:                               ;   in Loop: Header=BB1_29 Depth=1
	v_or_b32_sdwa v10, v10, s26 dst_sel:DWORD dst_unused:UNUSED_PAD src0_sel:BYTE_3 src1_sel:DWORD
	v_cmp_eq_u64_e32 vcc, 0, v[18:19]
	v_cndmask_b32_e32 v11, v10, v11, vcc
; %bb.61:                               ;   in Loop: Header=BB1_29 Depth=1
	s_or_b64 exec, exec, s[0:1]
	v_add_u32_e32 v10, 1, v21
	global_store_byte v10, v11, s[2:3]
	v_mul_f32_e32 v10, v12, v1
	v_mul_f32_e32 v10, v10, v16
	;; [unrolled: 1-line block ×3, first 2 shown]
	v_min_f32_e32 v10, 0x43e00000, v10
	v_max_f32_e32 v10, 0xc3e00000, v10
	v_and_b32_sdwa v12, v10, s24 dst_sel:DWORD dst_unused:UNUSED_PAD src0_sel:BYTE_3 src1_sel:DWORD
	v_and_b32_e32 v14, 0x7f800000, v10
	v_mov_b32_e32 v15, v19
	v_and_b32_e32 v18, 0x7fffff, v10
	v_or_b32_e32 v11, 0x7e, v12
	v_cmp_ne_u64_e32 vcc, s[6:7], v[14:15]
	s_and_saveexec_b64 s[0:1], vcc
	s_xor_b64 s[12:13], exec, s[0:1]
	s_cbranch_execz .LBB1_75
; %bb.62:                               ;   in Loop: Header=BB1_29 Depth=1
	v_and_b32_e32 v14, 0x7fffffff, v10
	v_mov_b32_e32 v15, v19
	v_cmp_gt_u64_e32 vcc, s[10:11], v[14:15]
	s_and_saveexec_b64 s[0:1], vcc
	s_xor_b64 s[14:15], exec, s[0:1]
	s_cbranch_execz .LBB1_74
; %bb.63:                               ;   in Loop: Header=BB1_29 Depth=1
	v_cmp_ne_u32_e32 vcc, 0, v10
	v_mov_b32_e32 v11, 0
	s_and_saveexec_b64 s[16:17], vcc
	s_cbranch_execz .LBB1_73
; %bb.64:                               ;   in Loop: Header=BB1_29 Depth=1
	v_bfe_u32 v10, v10, 23, 8
	v_sub_u32_e64 v11, s25, v10 clamp
	v_cmp_eq_u32_e32 vcc, 0, v10
	v_cndmask_b32_e32 v22, v11, v25, vcc
	v_add_u32_e32 v16, 0xffffff88, v10
	v_add_u32_e32 v10, 20, v22
	v_or_b32_e32 v14, 0x800000, v18
	v_lshlrev_b64 v[10:11], v10, -1
	v_cndmask_b32_e32 v18, v14, v18, vcc
	v_not_b32_e32 v11, v11
	v_not_b32_e32 v10, v10
	v_add_u32_e32 v14, 19, v22
	v_and_b32_e32 v11, 0, v11
	v_and_b32_e32 v10, v18, v10
	v_lshlrev_b64 v[14:15], v14, 1
	v_cmp_eq_u64_e64 s[0:1], v[10:11], v[14:15]
	v_lshrrev_b64 v[10:11], v22, v[18:19]
	v_and_b32_e32 v18, 0x100000, v10
	v_cndmask_b32_e32 v14, v16, v26, vcc
	v_cmp_eq_u64_e32 vcc, 0, v[18:19]
	v_lshrrev_b32_e32 v15, 23, v10
	s_and_b64 vcc, vcc, s[0:1]
	v_add3_u32 v15, v14, v22, v15
	v_subbrev_co_u32_e32 v14, vcc, 0, v10, vcc
	v_and_b32_e32 v14, 0xfffff, v14
	v_add_co_u32_e32 v10, vcc, v14, v10
	v_add_u32_e32 v16, -1, v15
	v_addc_co_u32_e32 v11, vcc, 0, v11, vcc
	v_cmp_ne_u32_e32 vcc, 0, v16
                                        ; implicit-def: $vgpr14
	s_and_saveexec_b64 s[0:1], vcc
	s_xor_b64 s[0:1], exec, s[0:1]
; %bb.65:                               ;   in Loop: Header=BB1_29 Depth=1
	v_and_b32_e32 v18, 0x1000000, v10
	v_cmp_eq_u64_e32 vcc, 0, v[18:19]
	v_cndmask_b32_e32 v14, v15, v16, vcc
	v_bfe_u32 v15, v10, 24, 1
	v_lshrrev_b64 v[10:11], v15, v[10:11]
; %bb.66:                               ;   in Loop: Header=BB1_29 Depth=1
	s_andn2_saveexec_b64 s[0:1], s[0:1]
; %bb.67:                               ;   in Loop: Header=BB1_29 Depth=1
	v_bfe_u32 v14, v10, 23, 1
; %bb.68:                               ;   in Loop: Header=BB1_29 Depth=1
	s_or_b64 exec, exec, s[0:1]
	v_lshrrev_b64 v[10:11], 20, v[10:11]
	v_cmp_gt_i32_e32 vcc, 16, v14
	v_cndmask_b32_e32 v11, 0, v11, vcc
	v_cndmask_b32_e32 v10, 7, v10, vcc
	v_cmp_ne_u32_e32 vcc, 0, v14
	v_cmp_ne_u64_e64 s[0:1], 0, v[10:11]
	s_or_b64 s[0:1], vcc, s[0:1]
                                        ; implicit-def: $vgpr11
	s_and_saveexec_b64 s[28:29], s[0:1]
	s_xor_b64 s[0:1], exec, s[28:29]
; %bb.69:                               ;   in Loop: Header=BB1_29 Depth=1
	v_min_i32_e32 v11, 15, v14
	v_lshl_or_b32 v11, v11, 3, v12
	v_and_or_b32 v11, v10, 7, v11
                                        ; implicit-def: $vgpr12
; %bb.70:                               ;   in Loop: Header=BB1_29 Depth=1
	s_andn2_saveexec_b64 s[0:1], s[0:1]
; %bb.71:                               ;   in Loop: Header=BB1_29 Depth=1
	v_mov_b32_e32 v11, v12
; %bb.72:                               ;   in Loop: Header=BB1_29 Depth=1
	s_or_b64 exec, exec, s[0:1]
.LBB1_73:                               ;   in Loop: Header=BB1_29 Depth=1
	s_or_b64 exec, exec, s[16:17]
.LBB1_74:                               ;   in Loop: Header=BB1_29 Depth=1
	s_andn2_saveexec_b64 s[0:1], s[14:15]
	s_or_b64 exec, exec, s[0:1]
                                        ; implicit-def: $vgpr10
.LBB1_75:                               ;   in Loop: Header=BB1_29 Depth=1
	s_andn2_saveexec_b64 s[0:1], s[12:13]
; %bb.76:                               ;   in Loop: Header=BB1_29 Depth=1
	v_or_b32_sdwa v10, v10, s26 dst_sel:DWORD dst_unused:UNUSED_PAD src0_sel:BYTE_3 src1_sel:DWORD
	v_cmp_eq_u64_e32 vcc, 0, v[18:19]
	v_cndmask_b32_e32 v11, v10, v11, vcc
; %bb.77:                               ;   in Loop: Header=BB1_29 Depth=1
	s_or_b64 exec, exec, s[0:1]
	v_add_u32_e32 v10, 2, v21
	global_store_byte v10, v11, s[2:3]
	v_mul_f32_e32 v10, v13, v1
	v_mul_f32_e32 v10, v10, v17
	;; [unrolled: 1-line block ×3, first 2 shown]
	v_min_f32_e32 v10, 0x43e00000, v10
	v_max_f32_e32 v10, 0xc3e00000, v10
	v_and_b32_sdwa v12, v10, s24 dst_sel:DWORD dst_unused:UNUSED_PAD src0_sel:BYTE_3 src1_sel:DWORD
	v_and_b32_e32 v14, 0x7f800000, v10
	v_mov_b32_e32 v15, v19
	v_and_b32_e32 v18, 0x7fffff, v10
	v_or_b32_e32 v11, 0x7e, v12
	v_cmp_ne_u64_e32 vcc, s[6:7], v[14:15]
	s_and_saveexec_b64 s[0:1], vcc
	s_xor_b64 s[12:13], exec, s[0:1]
	s_cbranch_execz .LBB1_91
; %bb.78:                               ;   in Loop: Header=BB1_29 Depth=1
	v_and_b32_e32 v14, 0x7fffffff, v10
	v_mov_b32_e32 v15, v19
	v_cmp_gt_u64_e32 vcc, s[10:11], v[14:15]
	s_and_saveexec_b64 s[0:1], vcc
	s_xor_b64 s[14:15], exec, s[0:1]
	s_cbranch_execz .LBB1_90
; %bb.79:                               ;   in Loop: Header=BB1_29 Depth=1
	v_cmp_ne_u32_e32 vcc, 0, v10
	v_mov_b32_e32 v11, 0
	s_and_saveexec_b64 s[16:17], vcc
	s_cbranch_execz .LBB1_89
; %bb.80:                               ;   in Loop: Header=BB1_29 Depth=1
	v_bfe_u32 v10, v10, 23, 8
	v_sub_u32_e64 v11, s25, v10 clamp
	v_cmp_eq_u32_e32 vcc, 0, v10
	v_cndmask_b32_e32 v17, v11, v25, vcc
	v_add_u32_e32 v16, 0xffffff88, v10
	v_add_u32_e32 v10, 20, v17
	v_or_b32_e32 v13, 0x800000, v18
	v_lshlrev_b64 v[10:11], v10, -1
	v_cndmask_b32_e32 v18, v13, v18, vcc
	v_not_b32_e32 v11, v11
	v_not_b32_e32 v10, v10
	v_add_u32_e32 v13, 19, v17
	v_and_b32_e32 v11, 0, v11
	v_and_b32_e32 v10, v18, v10
	v_lshlrev_b64 v[14:15], v13, 1
	v_cmp_eq_u64_e64 s[0:1], v[10:11], v[14:15]
	v_lshrrev_b64 v[10:11], v17, v[18:19]
	v_and_b32_e32 v18, 0x100000, v10
	v_cndmask_b32_e32 v13, v16, v26, vcc
	v_cmp_eq_u64_e32 vcc, 0, v[18:19]
	v_lshrrev_b32_e32 v14, 23, v10
	s_and_b64 vcc, vcc, s[0:1]
	v_add3_u32 v14, v13, v17, v14
	v_subbrev_co_u32_e32 v13, vcc, 0, v10, vcc
	v_and_b32_e32 v13, 0xfffff, v13
	v_add_co_u32_e32 v10, vcc, v13, v10
	v_add_u32_e32 v15, -1, v14
	v_addc_co_u32_e32 v11, vcc, 0, v11, vcc
	v_cmp_ne_u32_e32 vcc, 0, v15
                                        ; implicit-def: $vgpr13
	s_and_saveexec_b64 s[0:1], vcc
	s_xor_b64 s[0:1], exec, s[0:1]
; %bb.81:                               ;   in Loop: Header=BB1_29 Depth=1
	v_and_b32_e32 v18, 0x1000000, v10
	v_cmp_eq_u64_e32 vcc, 0, v[18:19]
	v_cndmask_b32_e32 v13, v14, v15, vcc
	v_bfe_u32 v14, v10, 24, 1
	v_lshrrev_b64 v[10:11], v14, v[10:11]
; %bb.82:                               ;   in Loop: Header=BB1_29 Depth=1
	s_andn2_saveexec_b64 s[0:1], s[0:1]
; %bb.83:                               ;   in Loop: Header=BB1_29 Depth=1
	v_bfe_u32 v13, v10, 23, 1
; %bb.84:                               ;   in Loop: Header=BB1_29 Depth=1
	s_or_b64 exec, exec, s[0:1]
	v_lshrrev_b64 v[10:11], 20, v[10:11]
	v_cmp_gt_i32_e32 vcc, 16, v13
	v_cndmask_b32_e32 v11, 0, v11, vcc
	v_cndmask_b32_e32 v10, 7, v10, vcc
	v_cmp_ne_u32_e32 vcc, 0, v13
	v_cmp_ne_u64_e64 s[0:1], 0, v[10:11]
	s_or_b64 s[0:1], vcc, s[0:1]
                                        ; implicit-def: $vgpr11
	s_and_saveexec_b64 s[28:29], s[0:1]
	s_xor_b64 s[0:1], exec, s[28:29]
; %bb.85:                               ;   in Loop: Header=BB1_29 Depth=1
	v_min_i32_e32 v11, 15, v13
	v_lshl_or_b32 v11, v11, 3, v12
	v_and_or_b32 v11, v10, 7, v11
                                        ; implicit-def: $vgpr12
; %bb.86:                               ;   in Loop: Header=BB1_29 Depth=1
	s_andn2_saveexec_b64 s[0:1], s[0:1]
; %bb.87:                               ;   in Loop: Header=BB1_29 Depth=1
	v_mov_b32_e32 v11, v12
; %bb.88:                               ;   in Loop: Header=BB1_29 Depth=1
	s_or_b64 exec, exec, s[0:1]
.LBB1_89:                               ;   in Loop: Header=BB1_29 Depth=1
	s_or_b64 exec, exec, s[16:17]
.LBB1_90:                               ;   in Loop: Header=BB1_29 Depth=1
	s_andn2_saveexec_b64 s[0:1], s[14:15]
	s_or_b64 exec, exec, s[0:1]
                                        ; implicit-def: $vgpr10
.LBB1_91:                               ;   in Loop: Header=BB1_29 Depth=1
	s_andn2_saveexec_b64 s[0:1], s[12:13]
; %bb.92:                               ;   in Loop: Header=BB1_29 Depth=1
	v_or_b32_sdwa v10, v10, s26 dst_sel:DWORD dst_unused:UNUSED_PAD src0_sel:BYTE_3 src1_sel:DWORD
	v_cmp_eq_u64_e32 vcc, 0, v[18:19]
	v_cndmask_b32_e32 v11, v10, v11, vcc
; %bb.93:                               ;   in Loop: Header=BB1_29 Depth=1
	s_or_b64 exec, exec, s[0:1]
	s_waitcnt vmcnt(4)
	v_mul_f32_e32 v2, v2, v1
	s_waitcnt vmcnt(3)
	v_mul_f32_e32 v2, v2, v6
	v_mul_f32_e32 v2, v24, v2
	v_add_u32_e32 v10, 3, v21
	v_min_f32_e32 v2, 0x43e00000, v2
	global_store_byte v10, v11, s[2:3]
	v_max_f32_e32 v10, 0xc3e00000, v2
	v_and_b32_sdwa v2, v10, s24 dst_sel:DWORD dst_unused:UNUSED_PAD src0_sel:BYTE_3 src1_sel:DWORD
	v_and_b32_e32 v12, 0x7f800000, v10
	v_mov_b32_e32 v13, v19
	v_and_b32_e32 v18, 0x7fffff, v10
	v_or_b32_e32 v6, 0x7e, v2
	v_cmp_ne_u64_e32 vcc, s[6:7], v[12:13]
	s_and_saveexec_b64 s[0:1], vcc
	s_xor_b64 s[12:13], exec, s[0:1]
	s_cbranch_execz .LBB1_107
; %bb.94:                               ;   in Loop: Header=BB1_29 Depth=1
	v_and_b32_e32 v12, 0x7fffffff, v10
	v_mov_b32_e32 v13, v19
	v_cmp_gt_u64_e32 vcc, s[10:11], v[12:13]
	s_and_saveexec_b64 s[0:1], vcc
	s_xor_b64 s[14:15], exec, s[0:1]
	s_cbranch_execz .LBB1_106
; %bb.95:                               ;   in Loop: Header=BB1_29 Depth=1
	v_cmp_ne_u32_e32 vcc, 0, v10
	v_mov_b32_e32 v6, 0
	s_and_saveexec_b64 s[16:17], vcc
	s_cbranch_execz .LBB1_105
; %bb.96:                               ;   in Loop: Header=BB1_29 Depth=1
	v_bfe_u32 v6, v10, 23, 8
	v_sub_u32_e64 v10, s25, v6 clamp
	v_cmp_eq_u32_e32 vcc, 0, v6
	v_add_u32_e32 v14, 0xffffff88, v6
	v_cndmask_b32_e32 v6, v10, v25, vcc
	v_or_b32_e32 v11, 0x800000, v18
	v_add_u32_e32 v10, 20, v6
	v_cndmask_b32_e32 v18, v11, v18, vcc
	v_lshlrev_b64 v[10:11], v10, -1
	v_not_b32_e32 v11, v11
	v_not_b32_e32 v10, v10
	v_add_u32_e32 v12, 19, v6
	v_and_b32_e32 v11, 0, v11
	v_and_b32_e32 v10, v18, v10
	v_lshlrev_b64 v[12:13], v12, 1
	v_cmp_eq_u64_e64 s[0:1], v[10:11], v[12:13]
	v_lshrrev_b64 v[10:11], v6, v[18:19]
	v_and_b32_e32 v18, 0x100000, v10
	v_cndmask_b32_e32 v12, v14, v26, vcc
	v_cmp_eq_u64_e32 vcc, 0, v[18:19]
	v_lshrrev_b32_e32 v13, 23, v10
	s_and_b64 vcc, vcc, s[0:1]
	v_add3_u32 v6, v12, v6, v13
	v_subbrev_co_u32_e32 v12, vcc, 0, v10, vcc
	v_and_b32_e32 v12, 0xfffff, v12
	v_add_co_u32_e32 v10, vcc, v12, v10
	v_add_u32_e32 v13, -1, v6
	v_addc_co_u32_e32 v11, vcc, 0, v11, vcc
	v_cmp_ne_u32_e32 vcc, 0, v13
                                        ; implicit-def: $vgpr12
	s_and_saveexec_b64 s[0:1], vcc
	s_xor_b64 s[0:1], exec, s[0:1]
; %bb.97:                               ;   in Loop: Header=BB1_29 Depth=1
	v_and_b32_e32 v18, 0x1000000, v10
	v_cmp_eq_u64_e32 vcc, 0, v[18:19]
	v_cndmask_b32_e32 v12, v6, v13, vcc
	v_bfe_u32 v6, v10, 24, 1
	v_lshrrev_b64 v[10:11], v6, v[10:11]
; %bb.98:                               ;   in Loop: Header=BB1_29 Depth=1
	s_andn2_saveexec_b64 s[0:1], s[0:1]
; %bb.99:                               ;   in Loop: Header=BB1_29 Depth=1
	v_bfe_u32 v12, v10, 23, 1
; %bb.100:                              ;   in Loop: Header=BB1_29 Depth=1
	s_or_b64 exec, exec, s[0:1]
	v_lshrrev_b64 v[10:11], 20, v[10:11]
	v_cmp_gt_i32_e32 vcc, 16, v12
	v_cndmask_b32_e32 v11, 0, v11, vcc
	v_cndmask_b32_e32 v10, 7, v10, vcc
	v_cmp_ne_u32_e32 vcc, 0, v12
	v_cmp_ne_u64_e64 s[0:1], 0, v[10:11]
	s_or_b64 s[0:1], vcc, s[0:1]
                                        ; implicit-def: $vgpr6
	s_and_saveexec_b64 s[28:29], s[0:1]
	s_xor_b64 s[0:1], exec, s[28:29]
; %bb.101:                              ;   in Loop: Header=BB1_29 Depth=1
	v_min_i32_e32 v6, 15, v12
	v_lshl_or_b32 v2, v6, 3, v2
	v_and_or_b32 v6, v10, 7, v2
                                        ; implicit-def: $vgpr2
; %bb.102:                              ;   in Loop: Header=BB1_29 Depth=1
	s_andn2_saveexec_b64 s[0:1], s[0:1]
; %bb.103:                              ;   in Loop: Header=BB1_29 Depth=1
	v_mov_b32_e32 v6, v2
; %bb.104:                              ;   in Loop: Header=BB1_29 Depth=1
	s_or_b64 exec, exec, s[0:1]
.LBB1_105:                              ;   in Loop: Header=BB1_29 Depth=1
	s_or_b64 exec, exec, s[16:17]
.LBB1_106:                              ;   in Loop: Header=BB1_29 Depth=1
	s_andn2_saveexec_b64 s[0:1], s[14:15]
	s_or_b64 exec, exec, s[0:1]
                                        ; implicit-def: $vgpr10
.LBB1_107:                              ;   in Loop: Header=BB1_29 Depth=1
	s_andn2_saveexec_b64 s[0:1], s[12:13]
; %bb.108:                              ;   in Loop: Header=BB1_29 Depth=1
	v_or_b32_sdwa v2, v10, s26 dst_sel:DWORD dst_unused:UNUSED_PAD src0_sel:BYTE_3 src1_sel:DWORD
	v_cmp_eq_u64_e32 vcc, 0, v[18:19]
	v_cndmask_b32_e32 v6, v2, v6, vcc
; %bb.109:                              ;   in Loop: Header=BB1_29 Depth=1
	s_or_b64 exec, exec, s[0:1]
	v_add_u32_e32 v2, 4, v21
	global_store_byte v2, v6, s[2:3]
	v_mul_f32_e32 v2, v3, v1
	v_mul_f32_e32 v2, v2, v7
	;; [unrolled: 1-line block ×3, first 2 shown]
	v_min_f32_e32 v2, 0x43e00000, v2
	v_max_f32_e32 v2, 0xc3e00000, v2
	v_and_b32_sdwa v6, v2, s24 dst_sel:DWORD dst_unused:UNUSED_PAD src0_sel:BYTE_3 src1_sel:DWORD
	v_and_b32_e32 v10, 0x7f800000, v2
	v_mov_b32_e32 v11, v19
	v_and_b32_e32 v18, 0x7fffff, v2
	v_or_b32_e32 v3, 0x7e, v6
	v_cmp_ne_u64_e32 vcc, s[6:7], v[10:11]
	s_and_saveexec_b64 s[0:1], vcc
	s_xor_b64 s[12:13], exec, s[0:1]
	s_cbranch_execz .LBB1_123
; %bb.110:                              ;   in Loop: Header=BB1_29 Depth=1
	v_and_b32_e32 v10, 0x7fffffff, v2
	v_mov_b32_e32 v11, v19
	v_cmp_gt_u64_e32 vcc, s[10:11], v[10:11]
	s_and_saveexec_b64 s[0:1], vcc
	s_xor_b64 s[14:15], exec, s[0:1]
	s_cbranch_execz .LBB1_122
; %bb.111:                              ;   in Loop: Header=BB1_29 Depth=1
	v_cmp_ne_u32_e32 vcc, 0, v2
	v_mov_b32_e32 v3, 0
	s_and_saveexec_b64 s[16:17], vcc
	s_cbranch_execz .LBB1_121
; %bb.112:                              ;   in Loop: Header=BB1_29 Depth=1
	v_bfe_u32 v2, v2, 23, 8
	v_sub_u32_e64 v3, s25, v2 clamp
	v_cmp_eq_u32_e32 vcc, 0, v2
	v_cndmask_b32_e32 v13, v3, v25, vcc
	v_add_u32_e32 v12, 0xffffff88, v2
	v_add_u32_e32 v2, 20, v13
	v_or_b32_e32 v7, 0x800000, v18
	v_lshlrev_b64 v[2:3], v2, -1
	v_cndmask_b32_e32 v18, v7, v18, vcc
	v_not_b32_e32 v3, v3
	v_not_b32_e32 v2, v2
	v_add_u32_e32 v7, 19, v13
	v_and_b32_e32 v3, 0, v3
	v_and_b32_e32 v2, v18, v2
	v_lshlrev_b64 v[10:11], v7, 1
	v_cmp_eq_u64_e64 s[0:1], v[2:3], v[10:11]
	v_lshrrev_b64 v[2:3], v13, v[18:19]
	v_and_b32_e32 v18, 0x100000, v2
	v_cndmask_b32_e32 v7, v12, v26, vcc
	v_cmp_eq_u64_e32 vcc, 0, v[18:19]
	v_lshrrev_b32_e32 v10, 23, v2
	s_and_b64 vcc, vcc, s[0:1]
	v_add3_u32 v10, v7, v13, v10
	v_subbrev_co_u32_e32 v7, vcc, 0, v2, vcc
	v_and_b32_e32 v7, 0xfffff, v7
	v_add_co_u32_e32 v2, vcc, v7, v2
	v_add_u32_e32 v11, -1, v10
	v_addc_co_u32_e32 v3, vcc, 0, v3, vcc
	v_cmp_ne_u32_e32 vcc, 0, v11
                                        ; implicit-def: $vgpr7
	s_and_saveexec_b64 s[0:1], vcc
	s_xor_b64 s[0:1], exec, s[0:1]
; %bb.113:                              ;   in Loop: Header=BB1_29 Depth=1
	v_and_b32_e32 v18, 0x1000000, v2
	v_cmp_eq_u64_e32 vcc, 0, v[18:19]
	v_cndmask_b32_e32 v7, v10, v11, vcc
	v_bfe_u32 v10, v2, 24, 1
	v_lshrrev_b64 v[2:3], v10, v[2:3]
; %bb.114:                              ;   in Loop: Header=BB1_29 Depth=1
	s_andn2_saveexec_b64 s[0:1], s[0:1]
; %bb.115:                              ;   in Loop: Header=BB1_29 Depth=1
	v_bfe_u32 v7, v2, 23, 1
; %bb.116:                              ;   in Loop: Header=BB1_29 Depth=1
	s_or_b64 exec, exec, s[0:1]
	v_lshrrev_b64 v[2:3], 20, v[2:3]
	v_cmp_gt_i32_e32 vcc, 16, v7
	v_cndmask_b32_e32 v3, 0, v3, vcc
	v_cndmask_b32_e32 v2, 7, v2, vcc
	v_cmp_ne_u32_e32 vcc, 0, v7
	v_cmp_ne_u64_e64 s[0:1], 0, v[2:3]
	s_or_b64 s[0:1], vcc, s[0:1]
                                        ; implicit-def: $vgpr3
	s_and_saveexec_b64 s[28:29], s[0:1]
	s_xor_b64 s[0:1], exec, s[28:29]
; %bb.117:                              ;   in Loop: Header=BB1_29 Depth=1
	v_min_i32_e32 v3, 15, v7
	v_lshl_or_b32 v3, v3, 3, v6
	v_and_or_b32 v3, v2, 7, v3
                                        ; implicit-def: $vgpr6
; %bb.118:                              ;   in Loop: Header=BB1_29 Depth=1
	s_andn2_saveexec_b64 s[0:1], s[0:1]
; %bb.119:                              ;   in Loop: Header=BB1_29 Depth=1
	v_mov_b32_e32 v3, v6
; %bb.120:                              ;   in Loop: Header=BB1_29 Depth=1
	s_or_b64 exec, exec, s[0:1]
.LBB1_121:                              ;   in Loop: Header=BB1_29 Depth=1
	s_or_b64 exec, exec, s[16:17]
.LBB1_122:                              ;   in Loop: Header=BB1_29 Depth=1
	s_andn2_saveexec_b64 s[0:1], s[14:15]
	s_or_b64 exec, exec, s[0:1]
                                        ; implicit-def: $vgpr2
.LBB1_123:                              ;   in Loop: Header=BB1_29 Depth=1
	s_andn2_saveexec_b64 s[0:1], s[12:13]
; %bb.124:                              ;   in Loop: Header=BB1_29 Depth=1
	v_or_b32_sdwa v2, v2, s26 dst_sel:DWORD dst_unused:UNUSED_PAD src0_sel:BYTE_3 src1_sel:DWORD
	v_cmp_eq_u64_e32 vcc, 0, v[18:19]
	v_cndmask_b32_e32 v3, v2, v3, vcc
; %bb.125:                              ;   in Loop: Header=BB1_29 Depth=1
	s_or_b64 exec, exec, s[0:1]
	v_add_u32_e32 v2, 5, v21
	global_store_byte v2, v3, s[2:3]
	v_mul_f32_e32 v2, v4, v1
	v_mul_f32_e32 v2, v2, v8
	;; [unrolled: 1-line block ×3, first 2 shown]
	v_min_f32_e32 v2, 0x43e00000, v2
	v_max_f32_e32 v2, 0xc3e00000, v2
	v_and_b32_sdwa v4, v2, s24 dst_sel:DWORD dst_unused:UNUSED_PAD src0_sel:BYTE_3 src1_sel:DWORD
	v_and_b32_e32 v6, 0x7f800000, v2
	v_mov_b32_e32 v7, v19
	v_and_b32_e32 v18, 0x7fffff, v2
	v_or_b32_e32 v3, 0x7e, v4
	v_cmp_ne_u64_e32 vcc, s[6:7], v[6:7]
	s_and_saveexec_b64 s[0:1], vcc
	s_xor_b64 s[12:13], exec, s[0:1]
	s_cbranch_execz .LBB1_139
; %bb.126:                              ;   in Loop: Header=BB1_29 Depth=1
	v_and_b32_e32 v6, 0x7fffffff, v2
	v_mov_b32_e32 v7, v19
	v_cmp_gt_u64_e32 vcc, s[10:11], v[6:7]
	s_and_saveexec_b64 s[0:1], vcc
	s_xor_b64 s[14:15], exec, s[0:1]
	s_cbranch_execz .LBB1_138
; %bb.127:                              ;   in Loop: Header=BB1_29 Depth=1
	v_cmp_ne_u32_e32 vcc, 0, v2
	v_mov_b32_e32 v3, 0
	s_and_saveexec_b64 s[16:17], vcc
	s_cbranch_execz .LBB1_137
; %bb.128:                              ;   in Loop: Header=BB1_29 Depth=1
	v_bfe_u32 v2, v2, 23, 8
	v_sub_u32_e64 v3, s25, v2 clamp
	v_cmp_eq_u32_e32 vcc, 0, v2
	v_cndmask_b32_e32 v10, v3, v25, vcc
	v_add_u32_e32 v8, 0xffffff88, v2
	v_add_u32_e32 v2, 20, v10
	v_or_b32_e32 v6, 0x800000, v18
	v_lshlrev_b64 v[2:3], v2, -1
	v_cndmask_b32_e32 v18, v6, v18, vcc
	v_not_b32_e32 v3, v3
	v_not_b32_e32 v2, v2
	v_add_u32_e32 v6, 19, v10
	v_and_b32_e32 v3, 0, v3
	v_and_b32_e32 v2, v18, v2
	v_lshlrev_b64 v[6:7], v6, 1
	v_cmp_eq_u64_e64 s[0:1], v[2:3], v[6:7]
	v_lshrrev_b64 v[2:3], v10, v[18:19]
	v_and_b32_e32 v18, 0x100000, v2
	v_cndmask_b32_e32 v6, v8, v26, vcc
	v_cmp_eq_u64_e32 vcc, 0, v[18:19]
	v_lshrrev_b32_e32 v7, 23, v2
	s_and_b64 vcc, vcc, s[0:1]
	v_add3_u32 v7, v6, v10, v7
	v_subbrev_co_u32_e32 v6, vcc, 0, v2, vcc
	v_and_b32_e32 v6, 0xfffff, v6
	v_add_co_u32_e32 v2, vcc, v6, v2
	v_add_u32_e32 v8, -1, v7
	v_addc_co_u32_e32 v3, vcc, 0, v3, vcc
	v_cmp_ne_u32_e32 vcc, 0, v8
                                        ; implicit-def: $vgpr6
	s_and_saveexec_b64 s[0:1], vcc
	s_xor_b64 s[0:1], exec, s[0:1]
; %bb.129:                              ;   in Loop: Header=BB1_29 Depth=1
	v_and_b32_e32 v18, 0x1000000, v2
	v_cmp_eq_u64_e32 vcc, 0, v[18:19]
	v_cndmask_b32_e32 v6, v7, v8, vcc
	v_bfe_u32 v7, v2, 24, 1
	v_lshrrev_b64 v[2:3], v7, v[2:3]
; %bb.130:                              ;   in Loop: Header=BB1_29 Depth=1
	s_andn2_saveexec_b64 s[0:1], s[0:1]
; %bb.131:                              ;   in Loop: Header=BB1_29 Depth=1
	v_bfe_u32 v6, v2, 23, 1
; %bb.132:                              ;   in Loop: Header=BB1_29 Depth=1
	s_or_b64 exec, exec, s[0:1]
	v_lshrrev_b64 v[2:3], 20, v[2:3]
	v_cmp_gt_i32_e32 vcc, 16, v6
	v_cndmask_b32_e32 v3, 0, v3, vcc
	v_cndmask_b32_e32 v2, 7, v2, vcc
	v_cmp_ne_u32_e32 vcc, 0, v6
	v_cmp_ne_u64_e64 s[0:1], 0, v[2:3]
	s_or_b64 s[0:1], vcc, s[0:1]
                                        ; implicit-def: $vgpr3
	s_and_saveexec_b64 s[28:29], s[0:1]
	s_xor_b64 s[0:1], exec, s[28:29]
; %bb.133:                              ;   in Loop: Header=BB1_29 Depth=1
	v_min_i32_e32 v3, 15, v6
	v_lshl_or_b32 v3, v3, 3, v4
	v_and_or_b32 v3, v2, 7, v3
                                        ; implicit-def: $vgpr4
; %bb.134:                              ;   in Loop: Header=BB1_29 Depth=1
	s_andn2_saveexec_b64 s[0:1], s[0:1]
; %bb.135:                              ;   in Loop: Header=BB1_29 Depth=1
	v_mov_b32_e32 v3, v4
; %bb.136:                              ;   in Loop: Header=BB1_29 Depth=1
	s_or_b64 exec, exec, s[0:1]
.LBB1_137:                              ;   in Loop: Header=BB1_29 Depth=1
	s_or_b64 exec, exec, s[16:17]
.LBB1_138:                              ;   in Loop: Header=BB1_29 Depth=1
	s_andn2_saveexec_b64 s[0:1], s[14:15]
	s_or_b64 exec, exec, s[0:1]
                                        ; implicit-def: $vgpr2
.LBB1_139:                              ;   in Loop: Header=BB1_29 Depth=1
	s_andn2_saveexec_b64 s[0:1], s[12:13]
; %bb.140:                              ;   in Loop: Header=BB1_29 Depth=1
	v_or_b32_sdwa v2, v2, s26 dst_sel:DWORD dst_unused:UNUSED_PAD src0_sel:BYTE_3 src1_sel:DWORD
	v_cmp_eq_u64_e32 vcc, 0, v[18:19]
	v_cndmask_b32_e32 v3, v2, v3, vcc
; %bb.141:                              ;   in Loop: Header=BB1_29 Depth=1
	s_or_b64 exec, exec, s[0:1]
	v_add_u32_e32 v2, 6, v21
	global_store_byte v2, v3, s[2:3]
	v_mul_f32_e32 v2, v5, v1
	v_mul_f32_e32 v2, v2, v9
	;; [unrolled: 1-line block ×3, first 2 shown]
	v_min_f32_e32 v2, 0x43e00000, v2
	v_max_f32_e32 v2, 0xc3e00000, v2
	v_and_b32_sdwa v4, v2, s24 dst_sel:DWORD dst_unused:UNUSED_PAD src0_sel:BYTE_3 src1_sel:DWORD
	v_and_b32_e32 v6, 0x7f800000, v2
	v_mov_b32_e32 v7, v19
	v_and_b32_e32 v18, 0x7fffff, v2
	v_or_b32_e32 v3, 0x7e, v4
	v_cmp_ne_u64_e32 vcc, s[6:7], v[6:7]
	s_and_saveexec_b64 s[0:1], vcc
	s_xor_b64 s[12:13], exec, s[0:1]
	s_cbranch_execz .LBB1_155
; %bb.142:                              ;   in Loop: Header=BB1_29 Depth=1
	v_and_b32_e32 v6, 0x7fffffff, v2
	v_mov_b32_e32 v7, v19
	v_cmp_gt_u64_e32 vcc, s[10:11], v[6:7]
	s_and_saveexec_b64 s[0:1], vcc
	s_xor_b64 s[14:15], exec, s[0:1]
	s_cbranch_execz .LBB1_154
; %bb.143:                              ;   in Loop: Header=BB1_29 Depth=1
	v_cmp_ne_u32_e32 vcc, 0, v2
	v_mov_b32_e32 v3, 0
	s_and_saveexec_b64 s[16:17], vcc
	s_cbranch_execz .LBB1_153
; %bb.144:                              ;   in Loop: Header=BB1_29 Depth=1
	v_bfe_u32 v2, v2, 23, 8
	v_sub_u32_e64 v3, s25, v2 clamp
	v_cmp_eq_u32_e32 vcc, 0, v2
	v_cndmask_b32_e32 v9, v3, v25, vcc
	v_add_u32_e32 v8, 0xffffff88, v2
	v_add_u32_e32 v2, 20, v9
	v_or_b32_e32 v5, 0x800000, v18
	v_lshlrev_b64 v[2:3], v2, -1
	v_cndmask_b32_e32 v18, v5, v18, vcc
	v_not_b32_e32 v3, v3
	v_not_b32_e32 v2, v2
	v_add_u32_e32 v5, 19, v9
	v_and_b32_e32 v3, 0, v3
	v_and_b32_e32 v2, v18, v2
	v_lshlrev_b64 v[6:7], v5, 1
	v_cmp_eq_u64_e64 s[0:1], v[2:3], v[6:7]
	v_lshrrev_b64 v[2:3], v9, v[18:19]
	v_and_b32_e32 v18, 0x100000, v2
	v_cndmask_b32_e32 v5, v8, v26, vcc
	v_cmp_eq_u64_e32 vcc, 0, v[18:19]
	v_lshrrev_b32_e32 v6, 23, v2
	s_and_b64 vcc, vcc, s[0:1]
	v_add3_u32 v6, v5, v9, v6
	v_subbrev_co_u32_e32 v5, vcc, 0, v2, vcc
	v_and_b32_e32 v5, 0xfffff, v5
	v_add_co_u32_e32 v2, vcc, v5, v2
	v_add_u32_e32 v7, -1, v6
	v_addc_co_u32_e32 v3, vcc, 0, v3, vcc
	v_cmp_ne_u32_e32 vcc, 0, v7
                                        ; implicit-def: $vgpr5
	s_and_saveexec_b64 s[0:1], vcc
	s_xor_b64 s[0:1], exec, s[0:1]
; %bb.145:                              ;   in Loop: Header=BB1_29 Depth=1
	v_and_b32_e32 v18, 0x1000000, v2
	v_cmp_eq_u64_e32 vcc, 0, v[18:19]
	v_cndmask_b32_e32 v5, v6, v7, vcc
	v_bfe_u32 v6, v2, 24, 1
	v_lshrrev_b64 v[2:3], v6, v[2:3]
; %bb.146:                              ;   in Loop: Header=BB1_29 Depth=1
	s_andn2_saveexec_b64 s[0:1], s[0:1]
; %bb.147:                              ;   in Loop: Header=BB1_29 Depth=1
	v_bfe_u32 v5, v2, 23, 1
; %bb.148:                              ;   in Loop: Header=BB1_29 Depth=1
	s_or_b64 exec, exec, s[0:1]
	v_lshrrev_b64 v[2:3], 20, v[2:3]
	v_cmp_gt_i32_e32 vcc, 16, v5
	v_cndmask_b32_e32 v3, 0, v3, vcc
	v_cndmask_b32_e32 v2, 7, v2, vcc
	v_cmp_ne_u32_e32 vcc, 0, v5
	v_cmp_ne_u64_e64 s[0:1], 0, v[2:3]
	s_or_b64 s[0:1], vcc, s[0:1]
                                        ; implicit-def: $vgpr3
	s_and_saveexec_b64 s[28:29], s[0:1]
	s_xor_b64 s[0:1], exec, s[28:29]
; %bb.149:                              ;   in Loop: Header=BB1_29 Depth=1
	v_min_i32_e32 v3, 15, v5
	v_lshl_or_b32 v3, v3, 3, v4
	v_and_or_b32 v3, v2, 7, v3
                                        ; implicit-def: $vgpr4
; %bb.150:                              ;   in Loop: Header=BB1_29 Depth=1
	s_andn2_saveexec_b64 s[0:1], s[0:1]
; %bb.151:                              ;   in Loop: Header=BB1_29 Depth=1
	v_mov_b32_e32 v3, v4
; %bb.152:                              ;   in Loop: Header=BB1_29 Depth=1
	s_or_b64 exec, exec, s[0:1]
.LBB1_153:                              ;   in Loop: Header=BB1_29 Depth=1
	s_or_b64 exec, exec, s[16:17]
.LBB1_154:                              ;   in Loop: Header=BB1_29 Depth=1
	s_andn2_saveexec_b64 s[0:1], s[14:15]
	s_or_b64 exec, exec, s[0:1]
                                        ; implicit-def: $vgpr2
.LBB1_155:                              ;   in Loop: Header=BB1_29 Depth=1
	s_andn2_saveexec_b64 s[0:1], s[12:13]
	s_cbranch_execz .LBB1_28
; %bb.156:                              ;   in Loop: Header=BB1_29 Depth=1
	v_or_b32_sdwa v2, v2, s26 dst_sel:DWORD dst_unused:UNUSED_PAD src0_sel:BYTE_3 src1_sel:DWORD
	v_cmp_eq_u64_e32 vcc, 0, v[18:19]
	v_cndmask_b32_e32 v3, v2, v3, vcc
	s_branch .LBB1_28
.LBB1_157:
	s_endpgm
	.section	.rodata,"a",@progbits
	.p2align	6, 0x0
	.amdhsa_kernel _ZN4vllm32rms_norm_static_fp8_quant_kernelIfN3c1013Float8_e4m3fnELi8EEEvPT0_PKT_iS7_PKffii
		.amdhsa_group_segment_fixed_size 68
		.amdhsa_private_segment_fixed_size 0
		.amdhsa_kernarg_size 312
		.amdhsa_user_sgpr_count 6
		.amdhsa_user_sgpr_private_segment_buffer 1
		.amdhsa_user_sgpr_dispatch_ptr 0
		.amdhsa_user_sgpr_queue_ptr 0
		.amdhsa_user_sgpr_kernarg_segment_ptr 1
		.amdhsa_user_sgpr_dispatch_id 0
		.amdhsa_user_sgpr_flat_scratch_init 0
		.amdhsa_user_sgpr_kernarg_preload_length 0
		.amdhsa_user_sgpr_kernarg_preload_offset 0
		.amdhsa_user_sgpr_private_segment_size 0
		.amdhsa_uses_dynamic_stack 0
		.amdhsa_system_sgpr_private_segment_wavefront_offset 0
		.amdhsa_system_sgpr_workgroup_id_x 1
		.amdhsa_system_sgpr_workgroup_id_y 0
		.amdhsa_system_sgpr_workgroup_id_z 0
		.amdhsa_system_sgpr_workgroup_info 0
		.amdhsa_system_vgpr_workitem_id 0
		.amdhsa_next_free_vgpr 30
		.amdhsa_next_free_sgpr 30
		.amdhsa_accum_offset 32
		.amdhsa_reserve_vcc 1
		.amdhsa_reserve_flat_scratch 0
		.amdhsa_float_round_mode_32 0
		.amdhsa_float_round_mode_16_64 0
		.amdhsa_float_denorm_mode_32 3
		.amdhsa_float_denorm_mode_16_64 3
		.amdhsa_dx10_clamp 1
		.amdhsa_ieee_mode 1
		.amdhsa_fp16_overflow 0
		.amdhsa_tg_split 0
		.amdhsa_exception_fp_ieee_invalid_op 0
		.amdhsa_exception_fp_denorm_src 0
		.amdhsa_exception_fp_ieee_div_zero 0
		.amdhsa_exception_fp_ieee_overflow 0
		.amdhsa_exception_fp_ieee_underflow 0
		.amdhsa_exception_fp_ieee_inexact 0
		.amdhsa_exception_int_div_zero 0
	.end_amdhsa_kernel
	.section	.text._ZN4vllm32rms_norm_static_fp8_quant_kernelIfN3c1013Float8_e4m3fnELi8EEEvPT0_PKT_iS7_PKffii,"axG",@progbits,_ZN4vllm32rms_norm_static_fp8_quant_kernelIfN3c1013Float8_e4m3fnELi8EEEvPT0_PKT_iS7_PKffii,comdat
.Lfunc_end1:
	.size	_ZN4vllm32rms_norm_static_fp8_quant_kernelIfN3c1013Float8_e4m3fnELi8EEEvPT0_PKT_iS7_PKffii, .Lfunc_end1-_ZN4vllm32rms_norm_static_fp8_quant_kernelIfN3c1013Float8_e4m3fnELi8EEEvPT0_PKT_iS7_PKffii
                                        ; -- End function
	.section	.AMDGPU.csdata,"",@progbits
; Kernel info:
; codeLenInByte = 5592
; NumSgprs: 34
; NumVgprs: 30
; NumAgprs: 0
; TotalNumVgprs: 30
; ScratchSize: 0
; MemoryBound: 1
; FloatMode: 240
; IeeeMode: 1
; LDSByteSize: 68 bytes/workgroup (compile time only)
; SGPRBlocks: 4
; VGPRBlocks: 3
; NumSGPRsForWavesPerEU: 34
; NumVGPRsForWavesPerEU: 30
; AccumOffset: 32
; Occupancy: 8
; WaveLimiterHint : 0
; COMPUTE_PGM_RSRC2:SCRATCH_EN: 0
; COMPUTE_PGM_RSRC2:USER_SGPR: 6
; COMPUTE_PGM_RSRC2:TRAP_HANDLER: 0
; COMPUTE_PGM_RSRC2:TGID_X_EN: 1
; COMPUTE_PGM_RSRC2:TGID_Y_EN: 0
; COMPUTE_PGM_RSRC2:TGID_Z_EN: 0
; COMPUTE_PGM_RSRC2:TIDIG_COMP_CNT: 0
; COMPUTE_PGM_RSRC3_GFX90A:ACCUM_OFFSET: 7
; COMPUTE_PGM_RSRC3_GFX90A:TG_SPLIT: 0
	.section	.text._ZN4vllm32rms_norm_static_fp8_quant_kernelIfN3c1013Float8_e4m3fnELi4EEEvPT0_PKT_iS7_PKffii,"axG",@progbits,_ZN4vllm32rms_norm_static_fp8_quant_kernelIfN3c1013Float8_e4m3fnELi4EEEvPT0_PKT_iS7_PKffii,comdat
	.protected	_ZN4vllm32rms_norm_static_fp8_quant_kernelIfN3c1013Float8_e4m3fnELi4EEEvPT0_PKT_iS7_PKffii ; -- Begin function _ZN4vllm32rms_norm_static_fp8_quant_kernelIfN3c1013Float8_e4m3fnELi4EEEvPT0_PKT_iS7_PKffii
	.globl	_ZN4vllm32rms_norm_static_fp8_quant_kernelIfN3c1013Float8_e4m3fnELi4EEEvPT0_PKT_iS7_PKffii
	.p2align	8
	.type	_ZN4vllm32rms_norm_static_fp8_quant_kernelIfN3c1013Float8_e4m3fnELi4EEEvPT0_PKT_iS7_PKffii,@function
_ZN4vllm32rms_norm_static_fp8_quant_kernelIfN3c1013Float8_e4m3fnELi4EEEvPT0_PKT_iS7_PKffii: ; @_ZN4vllm32rms_norm_static_fp8_quant_kernelIfN3c1013Float8_e4m3fnELi4EEEvPT0_PKT_iS7_PKffii
; %bb.0:
	s_load_dword s2, s[4:5], 0x10
	s_load_dwordx2 s[0:1], s[4:5], 0x8
	s_load_dword s14, s[4:5], 0x30
	s_load_dword s10, s[4:5], 0x44
	s_mov_b32 s9, 0
	s_waitcnt lgkmcnt(0)
	s_mul_i32 s8, s6, s2
	s_lshl_b64 s[2:3], s[8:9], 2
	s_add_u32 s18, s0, s2
	s_addc_u32 s7, s1, s3
	s_and_b32 s19, s10, 0xffff
	s_and_b32 s8, s18, 15
	s_cmp_lg_u64 s[8:9], 0
	s_cselect_b64 s[8:9], -1, 0
	s_and_b32 s10, s14, 3
	s_cmp_lg_u32 s10, 0
	s_cselect_b64 s[10:11], -1, 0
	s_or_b64 s[8:9], s[8:9], s[10:11]
	s_and_b64 vcc, exec, s[8:9]
	s_cbranch_vccz .LBB2_14
; %bb.1:
	s_sub_i32 s8, 0, s18
	s_bfe_u32 s8, s8, 0x20002
	s_min_i32 s8, s8, s14
	v_cmp_gt_i32_e32 vcc, s8, v0
	v_mov_b32_e32 v1, 0
	s_and_saveexec_b64 s[10:11], vcc
	s_cbranch_execz .LBB2_5
; %bb.2:
	s_add_u32 s9, s0, s2
	v_lshlrev_b32_e32 v1, 2, v0
	s_addc_u32 s12, s1, s3
	s_mov_b32 s15, 0
	v_mov_b32_e32 v3, s12
	v_add_co_u32_e32 v2, vcc, s9, v1
	v_addc_co_u32_e32 v3, vcc, 0, v3, vcc
	s_lshl_b32 s9, s19, 2
	s_mov_b64 s[12:13], 0
	v_mov_b32_e32 v1, 0
	v_mov_b32_e32 v4, s15
	;; [unrolled: 1-line block ×3, first 2 shown]
.LBB2_3:                                ; =>This Inner Loop Header: Depth=1
	global_load_dword v6, v[2:3], off
	v_add_co_u32_e32 v2, vcc, s9, v2
	v_add_u32_e32 v5, s19, v5
	v_addc_co_u32_e32 v3, vcc, v3, v4, vcc
	v_cmp_le_i32_e32 vcc, s8, v5
	s_or_b64 s[12:13], vcc, s[12:13]
	s_waitcnt vmcnt(0)
	v_fmac_f32_e32 v1, v6, v6
	s_andn2_b64 exec, exec, s[12:13]
	s_cbranch_execnz .LBB2_3
; %bb.4:
	s_or_b64 exec, exec, s[12:13]
.LBB2_5:
	s_or_b64 exec, exec, s[10:11]
	s_sub_i32 s15, s14, s8
	s_ashr_i32 s10, s15, 31
	s_lshr_b32 s10, s10, 30
	s_add_i32 s10, s15, s10
	s_ashr_i32 s16, s10, 2
	s_ashr_i32 s9, s8, 31
	v_cmp_gt_i32_e32 vcc, s16, v0
	s_and_saveexec_b64 s[10:11], vcc
	s_cbranch_execz .LBB2_9
; %bb.6:
	s_lshl_b64 s[12:13], s[8:9], 2
	s_add_u32 s17, s0, s2
	s_addc_u32 s21, s1, s3
	s_add_u32 s12, s17, s12
	v_lshlrev_b32_e32 v2, 4, v0
	s_addc_u32 s13, s21, s13
	v_mov_b32_e32 v3, s13
	v_add_co_u32_e32 v2, vcc, s12, v2
	v_addc_co_u32_e32 v3, vcc, 0, v3, vcc
	s_mov_b32 s20, 0
	v_add_co_u32_e32 v2, vcc, 8, v2
	v_addc_co_u32_e32 v3, vcc, 0, v3, vcc
	s_lshl_b32 s17, s19, 4
	s_mov_b64 s[12:13], 0
	v_mov_b32_e32 v4, s20
	v_mov_b32_e32 v5, v0
.LBB2_7:                                ; =>This Inner Loop Header: Depth=1
	global_load_dwordx4 v[6:9], v[2:3], off offset:-8
	v_add_co_u32_e32 v2, vcc, s17, v2
	v_add_u32_e32 v5, s19, v5
	v_addc_co_u32_e32 v3, vcc, v3, v4, vcc
	v_cmp_le_i32_e32 vcc, s16, v5
	s_or_b64 s[12:13], vcc, s[12:13]
	s_waitcnt vmcnt(0)
	v_fmac_f32_e32 v1, v6, v6
	v_fmac_f32_e32 v1, v7, v7
	v_fmac_f32_e32 v1, v8, v8
	v_fmac_f32_e32 v1, v9, v9
	s_andn2_b64 exec, exec, s[12:13]
	s_cbranch_execnz .LBB2_7
; %bb.8:
	s_or_b64 exec, exec, s[12:13]
.LBB2_9:
	s_or_b64 exec, exec, s[10:11]
	v_lshl_add_u32 v2, s16, 2, v0
	v_cmp_gt_i32_e32 vcc, s15, v2
	s_and_saveexec_b64 s[10:11], vcc
	s_cbranch_execz .LBB2_13
; %bb.10:
	s_lshl_b64 s[8:9], s[8:9], 2
	s_add_u32 s12, s0, s2
	s_addc_u32 s13, s1, s3
	v_ashrrev_i32_e32 v3, 31, v2
	s_add_u32 s8, s12, s8
	v_lshlrev_b64 v[4:5], 2, v[2:3]
	s_addc_u32 s9, s13, s9
	v_mov_b32_e32 v3, s9
	v_add_co_u32_e32 v4, vcc, s8, v4
	s_mov_b32 s13, 0
	v_addc_co_u32_e32 v5, vcc, v3, v5, vcc
	s_lshl_b32 s12, s19, 2
	s_mov_b64 s[8:9], 0
	v_mov_b32_e32 v3, s13
.LBB2_11:                               ; =>This Inner Loop Header: Depth=1
	global_load_dword v6, v[4:5], off
	v_add_co_u32_e32 v4, vcc, s12, v4
	v_add_u32_e32 v2, s19, v2
	v_addc_co_u32_e32 v5, vcc, v5, v3, vcc
	v_cmp_le_i32_e32 vcc, s15, v2
	s_or_b64 s[8:9], vcc, s[8:9]
	s_waitcnt vmcnt(0)
	v_fmac_f32_e32 v1, v6, v6
	s_andn2_b64 exec, exec, s[8:9]
	s_cbranch_execnz .LBB2_11
; %bb.12:
	s_or_b64 exec, exec, s[8:9]
.LBB2_13:
	s_or_b64 exec, exec, s[10:11]
	s_branch .LBB2_20
.LBB2_14:
                                        ; implicit-def: $vgpr1
	s_cbranch_execz .LBB2_20
; %bb.15:
	s_ashr_i32 s10, s14, 2
	v_cmp_gt_i32_e32 vcc, s10, v0
	v_mov_b32_e32 v1, 0
	s_and_saveexec_b64 s[8:9], vcc
	s_cbranch_execz .LBB2_19
; %bb.16:
	s_add_u32 s0, s0, s2
	v_lshlrev_b32_e32 v1, 4, v0
	s_addc_u32 s1, s1, s3
	v_mov_b32_e32 v2, s1
	v_add_co_u32_e32 v1, vcc, s0, v1
	v_addc_co_u32_e32 v3, vcc, 0, v2, vcc
	s_mov_b32 s11, 0
	v_add_co_u32_e32 v2, vcc, 8, v1
	v_addc_co_u32_e32 v3, vcc, 0, v3, vcc
	s_lshl_b32 s2, s19, 4
	s_mov_b64 s[0:1], 0
	v_mov_b32_e32 v1, 0
	v_mov_b32_e32 v4, s11
	;; [unrolled: 1-line block ×3, first 2 shown]
.LBB2_17:                               ; =>This Inner Loop Header: Depth=1
	global_load_dwordx4 v[6:9], v[2:3], off offset:-8
	v_add_co_u32_e32 v2, vcc, s2, v2
	v_add_u32_e32 v5, s19, v5
	v_addc_co_u32_e32 v3, vcc, v3, v4, vcc
	v_cmp_le_i32_e32 vcc, s10, v5
	s_or_b64 s[0:1], vcc, s[0:1]
	s_waitcnt vmcnt(0)
	v_fmac_f32_e32 v1, v6, v6
	v_fmac_f32_e32 v1, v7, v7
	;; [unrolled: 1-line block ×4, first 2 shown]
	s_andn2_b64 exec, exec, s[0:1]
	s_cbranch_execnz .LBB2_17
; %bb.18:
	s_or_b64 exec, exec, s[0:1]
.LBB2_19:
	s_or_b64 exec, exec, s[8:9]
.LBB2_20:
	v_mbcnt_lo_u32_b32 v2, -1, 0
	v_mbcnt_hi_u32_b32 v2, -1, v2
	v_and_b32_e32 v3, 63, v2
	v_cmp_ne_u32_e32 vcc, 63, v3
	v_addc_co_u32_e32 v4, vcc, 0, v2, vcc
	v_lshlrev_b32_e32 v4, 2, v4
	ds_bpermute_b32 v4, v4, v1
	v_and_b32_e32 v5, 0x3c0, v0
	v_sub_u32_e64 v5, s19, v5 clamp
	v_add_u32_e32 v6, 1, v2
	v_cmp_lt_u32_e32 vcc, v6, v5
	s_waitcnt lgkmcnt(0)
	v_add_f32_e32 v4, v1, v4
	v_cndmask_b32_e32 v1, v1, v4, vcc
	v_cmp_gt_u32_e32 vcc, 62, v3
	v_cndmask_b32_e64 v4, 0, 1, vcc
	v_lshlrev_b32_e32 v4, 1, v4
	v_add_lshl_u32 v4, v4, v2, 2
	ds_bpermute_b32 v4, v4, v1
	v_add_u32_e32 v6, 2, v2
	v_cmp_lt_u32_e32 vcc, v6, v5
	v_add_u32_e32 v6, 4, v2
	s_waitcnt lgkmcnt(0)
	v_add_f32_e32 v4, v1, v4
	v_cndmask_b32_e32 v1, v1, v4, vcc
	v_cmp_gt_u32_e32 vcc, 60, v3
	v_cndmask_b32_e64 v4, 0, 1, vcc
	v_lshlrev_b32_e32 v4, 2, v4
	v_add_lshl_u32 v4, v4, v2, 2
	ds_bpermute_b32 v4, v4, v1
	v_cmp_lt_u32_e32 vcc, v6, v5
	v_add_u32_e32 v6, 8, v2
	s_waitcnt lgkmcnt(0)
	v_add_f32_e32 v4, v1, v4
	v_cndmask_b32_e32 v1, v1, v4, vcc
	v_cmp_gt_u32_e32 vcc, 56, v3
	v_cndmask_b32_e64 v4, 0, 1, vcc
	v_lshlrev_b32_e32 v4, 3, v4
	v_add_lshl_u32 v4, v4, v2, 2
	ds_bpermute_b32 v4, v4, v1
	;; [unrolled: 10-line block ×3, first 2 shown]
	v_cmp_lt_u32_e32 vcc, v6, v5
	s_waitcnt lgkmcnt(0)
	v_add_f32_e32 v4, v1, v4
	v_cndmask_b32_e32 v1, v1, v4, vcc
	v_cmp_gt_u32_e32 vcc, 32, v3
	v_cndmask_b32_e64 v3, 0, 1, vcc
	v_lshlrev_b32_e32 v3, 5, v3
	v_add_lshl_u32 v3, v3, v2, 2
	ds_bpermute_b32 v3, v3, v1
	v_add_u32_e32 v4, 32, v2
	v_cmp_lt_u32_e32 vcc, v4, v5
	s_waitcnt lgkmcnt(0)
	v_add_f32_e32 v3, v1, v3
	v_cndmask_b32_e32 v1, v1, v3, vcc
	v_cmp_eq_u32_e32 vcc, 0, v2
	s_and_saveexec_b64 s[0:1], vcc
	s_cbranch_execz .LBB2_22
; %bb.21:
	v_lshrrev_b32_e32 v3, 4, v0
	v_and_b32_e32 v3, 60, v3
	ds_write_b32 v3, v1
.LBB2_22:
	s_or_b64 exec, exec, s[0:1]
	v_cmp_gt_u32_e32 vcc, 16, v0
	s_waitcnt lgkmcnt(0)
	s_barrier
	s_and_saveexec_b64 s[2:3], vcc
	s_cbranch_execz .LBB2_24
; %bb.23:
	v_lshlrev_b32_e32 v1, 2, v2
	ds_read_b32 v1, v1
	v_and_b32_e32 v3, 15, v2
	v_cmp_ne_u32_e32 vcc, 15, v3
	v_addc_co_u32_e32 v4, vcc, 0, v2, vcc
	v_lshlrev_b32_e32 v4, 2, v4
	s_waitcnt lgkmcnt(0)
	ds_bpermute_b32 v4, v4, v1
	s_add_i32 s0, s19, 63
	s_lshr_b32 s8, s0, 6
	v_add_u32_e32 v5, 1, v3
	v_cmp_gt_u32_e64 s[0:1], 14, v3
	v_cmp_gt_u32_e32 vcc, s8, v5
	v_cndmask_b32_e64 v5, 0, 1, s[0:1]
	s_waitcnt lgkmcnt(0)
	v_add_f32_e32 v4, v1, v4
	v_lshlrev_b32_e32 v5, 1, v5
	v_cndmask_b32_e32 v4, v1, v4, vcc
	v_add_lshl_u32 v5, v5, v2, 2
	ds_bpermute_b32 v5, v5, v4
	v_add_u32_e32 v6, 2, v3
	v_cmp_gt_u32_e64 s[0:1], s8, v6
	v_add_u32_e32 v6, 4, v3
	s_waitcnt lgkmcnt(0)
	v_add_f32_e32 v5, v4, v5
	v_cndmask_b32_e64 v4, v4, v5, s[0:1]
	v_cmp_gt_u32_e64 s[0:1], 12, v3
	v_cndmask_b32_e64 v5, 0, 1, s[0:1]
	v_lshlrev_b32_e32 v5, 2, v5
	v_add_lshl_u32 v5, v5, v2, 2
	ds_bpermute_b32 v5, v5, v4
	v_cmp_gt_u32_e64 s[0:1], s8, v6
	s_waitcnt lgkmcnt(0)
	v_add_f32_e32 v5, v4, v5
	v_cndmask_b32_e64 v4, v4, v5, s[0:1]
	v_cmp_gt_u32_e64 s[0:1], 8, v3
	v_cndmask_b32_e64 v5, 0, 1, s[0:1]
	v_lshlrev_b32_e32 v5, 3, v5
	v_add_lshl_u32 v2, v5, v2, 2
	ds_bpermute_b32 v2, v2, v4
	v_add_u32_e32 v3, 8, v3
	v_cmp_gt_u32_e64 s[0:1], s8, v3
	s_waitcnt lgkmcnt(0)
	v_add_f32_e32 v2, v4, v2
	v_cndmask_b32_e64 v2, v4, v2, s[0:1]
	v_cndmask_b32_e32 v1, v1, v2, vcc
.LBB2_24:
	s_or_b64 exec, exec, s[2:3]
	v_cmp_eq_u32_e32 vcc, 0, v0
	s_and_saveexec_b64 s[0:1], vcc
	s_cbranch_execz .LBB2_26
; %bb.25:
	v_cvt_f32_i32_e32 v2, s14
	s_load_dword s8, s[4:5], 0x28
	v_div_scale_f32 v3, s[2:3], v2, v2, v1
	v_rcp_f32_e32 v4, v3
	v_div_scale_f32 v5, vcc, v1, v2, v1
	s_mov_b32 s2, 0x800000
	v_fma_f32 v6, -v3, v4, 1.0
	v_fmac_f32_e32 v4, v6, v4
	v_mul_f32_e32 v6, v5, v4
	v_fma_f32 v7, -v3, v6, v5
	v_fmac_f32_e32 v6, v7, v4
	v_fma_f32 v3, -v3, v6, v5
	v_div_fmas_f32 v3, v3, v4, v6
	v_div_fixup_f32 v1, v3, v2, v1
	s_waitcnt lgkmcnt(0)
	v_add_f32_e32 v1, s8, v1
	v_mul_f32_e32 v2, 0x4b800000, v1
	v_cmp_gt_f32_e32 vcc, s2, v1
	v_cndmask_b32_e32 v1, v1, v2, vcc
	v_rsq_f32_e32 v1, v1
	v_mul_f32_e32 v2, 0x45800000, v1
	v_cndmask_b32_e32 v1, v1, v2, vcc
	v_mov_b32_e32 v2, 0
	ds_write_b32 v2, v1 offset:64
.LBB2_26:
	s_or_b64 exec, exec, s[0:1]
	s_ashr_i32 s0, s14, 31
	s_lshr_b32 s0, s0, 30
	s_add_i32 s0, s14, s0
	s_ashr_i32 s20, s0, 2
	v_cmp_gt_i32_e32 vcc, s20, v0
	s_waitcnt lgkmcnt(0)
	s_barrier
	s_and_saveexec_b64 s[0:1], vcc
	s_cbranch_execz .LBB2_93
; %bb.27:
	s_load_dwordx4 s[8:11], s[4:5], 0x18
	s_load_dwordx2 s[2:3], s[4:5], 0x0
	v_mov_b32_e32 v11, 0
	ds_read_b32 v1, v11 offset:64
	s_mul_i32 s6, s6, s14
	s_waitcnt lgkmcnt(0)
	s_load_dword s4, s[10:11], 0x0
	v_lshlrev_b32_e32 v10, 4, v0
	s_lshl_b32 s21, s19, 2
	v_lshl_add_u32 v16, v0, 2, s6
	s_mov_b32 s22, 0
	s_waitcnt lgkmcnt(0)
	v_div_scale_f32 v2, s[0:1], s4, s4, 1.0
	v_rcp_f32_e32 v3, v2
	v_div_scale_f32 v4, vcc, 1.0, s4, 1.0
	s_lshl_b32 s23, s19, 4
	v_fma_f32 v5, -v2, v3, 1.0
	v_fmac_f32_e32 v3, v5, v3
	v_mul_f32_e32 v5, v4, v3
	v_fma_f32 v6, -v2, v5, v4
	v_fmac_f32_e32 v5, v6, v3
	v_fma_f32 v2, -v2, v5, v4
	v_div_fmas_f32 v2, v2, v3, v5
	v_div_fixup_f32 v17, v2, s4, 1.0
	s_mov_b64 s[4:5], 0
	v_mov_b32_e32 v18, s7
	v_mov_b32_e32 v19, s9
	s_movk_i32 s9, 0x80
	s_mov_b64 s[6:7], 0x7f800000
	s_mov_b64 s[10:11], 0x43e00001
	s_movk_i32 s24, 0x79
	s_movk_i32 s25, 0x7f
	v_mov_b32_e32 v20, 0x78
	v_mov_b32_e32 v21, 0xffffff89
	v_pk_mov_b32 v[12:13], v[10:11], v[10:11] op_sel:[0,1]
	s_branch .LBB2_29
.LBB2_28:                               ;   in Loop: Header=BB2_29 Depth=1
	s_or_b64 exec, exec, s[0:1]
	v_add_u32_e32 v0, s19, v0
	v_add_u32_e32 v2, 3, v16
	v_cmp_le_i32_e32 vcc, s20, v0
	global_store_byte v2, v3, s[2:3]
	v_mov_b32_e32 v2, s22
	s_or_b64 s[4:5], vcc, s[4:5]
	v_add_co_u32_e32 v12, vcc, s23, v12
	v_add_u32_e32 v16, s21, v16
	v_addc_co_u32_e32 v13, vcc, v13, v2, vcc
	s_andn2_b64 exec, exec, s[4:5]
	s_cbranch_execz .LBB2_93
.LBB2_29:                               ; =>This Inner Loop Header: Depth=1
	v_add_co_u32_e32 v2, vcc, s18, v12
	v_addc_co_u32_e32 v3, vcc, v18, v13, vcc
	v_add_co_u32_e32 v6, vcc, s8, v12
	global_load_dwordx4 v[2:5], v[2:3], off
	v_addc_co_u32_e32 v7, vcc, v19, v13, vcc
	global_load_dwordx4 v[6:9], v[6:7], off
	v_mov_b32_e32 v23, v11
	s_waitcnt vmcnt(1)
	v_mul_f32_e32 v2, v2, v1
	s_waitcnt vmcnt(0)
	v_mul_f32_e32 v2, v2, v6
	v_mul_f32_e32 v2, v17, v2
	v_min_f32_e32 v2, 0x43e00000, v2
	v_max_f32_e32 v14, 0xc3e00000, v2
	v_and_b32_sdwa v2, v14, s9 dst_sel:DWORD dst_unused:UNUSED_PAD src0_sel:BYTE_3 src1_sel:DWORD
	v_and_b32_e32 v22, 0x7f800000, v14
	v_and_b32_e32 v10, 0x7fffff, v14
	v_or_b32_e32 v6, 0x7e, v2
	v_cmp_ne_u64_e32 vcc, s[6:7], v[22:23]
	s_and_saveexec_b64 s[0:1], vcc
	s_xor_b64 s[12:13], exec, s[0:1]
	s_cbranch_execz .LBB2_43
; %bb.30:                               ;   in Loop: Header=BB2_29 Depth=1
	v_and_b32_e32 v22, 0x7fffffff, v14
	v_mov_b32_e32 v23, v11
	v_cmp_gt_u64_e32 vcc, s[10:11], v[22:23]
	s_and_saveexec_b64 s[0:1], vcc
	s_xor_b64 s[14:15], exec, s[0:1]
	s_cbranch_execz .LBB2_42
; %bb.31:                               ;   in Loop: Header=BB2_29 Depth=1
	v_cmp_ne_u32_e32 vcc, 0, v14
	v_mov_b32_e32 v6, 0
	s_and_saveexec_b64 s[16:17], vcc
	s_cbranch_execz .LBB2_41
; %bb.32:                               ;   in Loop: Header=BB2_29 Depth=1
	v_bfe_u32 v6, v14, 23, 8
	v_sub_u32_e64 v14, s24, v6 clamp
	v_cmp_eq_u32_e32 vcc, 0, v6
	v_add_u32_e32 v24, 0xffffff88, v6
	v_cndmask_b32_e32 v6, v14, v20, vcc
	v_or_b32_e32 v15, 0x800000, v10
	v_add_u32_e32 v14, 20, v6
	v_cndmask_b32_e32 v10, v15, v10, vcc
	v_lshlrev_b64 v[14:15], v14, -1
	v_not_b32_e32 v15, v15
	v_not_b32_e32 v14, v14
	v_add_u32_e32 v22, 19, v6
	v_and_b32_e32 v15, 0, v15
	v_and_b32_e32 v14, v10, v14
	v_lshlrev_b64 v[22:23], v22, 1
	v_cmp_eq_u64_e64 s[0:1], v[14:15], v[22:23]
	v_lshrrev_b64 v[14:15], v6, v[10:11]
	v_cndmask_b32_e32 v10, v24, v21, vcc
	v_lshrrev_b32_e32 v22, 23, v14
	v_add3_u32 v6, v10, v6, v22
	v_and_b32_e32 v10, 0x100000, v14
	v_cmp_eq_u64_e32 vcc, 0, v[10:11]
	s_and_b64 vcc, vcc, s[0:1]
	v_subbrev_co_u32_e32 v10, vcc, 0, v14, vcc
	v_and_b32_e32 v10, 0xfffff, v10
	v_add_co_u32_e32 v14, vcc, v10, v14
	v_add_u32_e32 v22, -1, v6
	v_addc_co_u32_e32 v15, vcc, 0, v15, vcc
	v_cmp_ne_u32_e32 vcc, 0, v22
                                        ; implicit-def: $vgpr10
	s_and_saveexec_b64 s[0:1], vcc
	s_xor_b64 s[0:1], exec, s[0:1]
; %bb.33:                               ;   in Loop: Header=BB2_29 Depth=1
	v_and_b32_e32 v10, 0x1000000, v14
	v_cmp_eq_u64_e32 vcc, 0, v[10:11]
	v_cndmask_b32_e32 v10, v6, v22, vcc
	v_bfe_u32 v6, v14, 24, 1
	v_lshrrev_b64 v[14:15], v6, v[14:15]
; %bb.34:                               ;   in Loop: Header=BB2_29 Depth=1
	s_andn2_saveexec_b64 s[0:1], s[0:1]
; %bb.35:                               ;   in Loop: Header=BB2_29 Depth=1
	v_bfe_u32 v10, v14, 23, 1
; %bb.36:                               ;   in Loop: Header=BB2_29 Depth=1
	s_or_b64 exec, exec, s[0:1]
	v_lshrrev_b64 v[14:15], 20, v[14:15]
	v_cmp_gt_i32_e32 vcc, 16, v10
	v_cndmask_b32_e32 v15, 0, v15, vcc
	v_cndmask_b32_e32 v14, 7, v14, vcc
	v_cmp_ne_u32_e32 vcc, 0, v10
	v_cmp_ne_u64_e64 s[0:1], 0, v[14:15]
	s_or_b64 s[0:1], vcc, s[0:1]
                                        ; implicit-def: $vgpr6
	s_and_saveexec_b64 s[26:27], s[0:1]
	s_xor_b64 s[0:1], exec, s[26:27]
; %bb.37:                               ;   in Loop: Header=BB2_29 Depth=1
	v_min_i32_e32 v6, 15, v10
	v_lshl_or_b32 v2, v6, 3, v2
	v_and_or_b32 v6, v14, 7, v2
                                        ; implicit-def: $vgpr2
; %bb.38:                               ;   in Loop: Header=BB2_29 Depth=1
	s_andn2_saveexec_b64 s[0:1], s[0:1]
; %bb.39:                               ;   in Loop: Header=BB2_29 Depth=1
	v_mov_b32_e32 v6, v2
; %bb.40:                               ;   in Loop: Header=BB2_29 Depth=1
	s_or_b64 exec, exec, s[0:1]
.LBB2_41:                               ;   in Loop: Header=BB2_29 Depth=1
	s_or_b64 exec, exec, s[16:17]
.LBB2_42:                               ;   in Loop: Header=BB2_29 Depth=1
	s_andn2_saveexec_b64 s[0:1], s[14:15]
	s_or_b64 exec, exec, s[0:1]
                                        ; implicit-def: $vgpr14
.LBB2_43:                               ;   in Loop: Header=BB2_29 Depth=1
	s_andn2_saveexec_b64 s[0:1], s[12:13]
; %bb.44:                               ;   in Loop: Header=BB2_29 Depth=1
	v_or_b32_sdwa v2, v14, s25 dst_sel:DWORD dst_unused:UNUSED_PAD src0_sel:BYTE_3 src1_sel:DWORD
	v_cmp_eq_u64_e32 vcc, 0, v[10:11]
	v_cndmask_b32_e32 v6, v2, v6, vcc
; %bb.45:                               ;   in Loop: Header=BB2_29 Depth=1
	s_or_b64 exec, exec, s[0:1]
	v_mul_f32_e32 v2, v3, v1
	v_mul_f32_e32 v2, v2, v7
	;; [unrolled: 1-line block ×3, first 2 shown]
	v_min_f32_e32 v2, 0x43e00000, v2
	v_max_f32_e32 v2, 0xc3e00000, v2
	global_store_byte v16, v6, s[2:3]
	v_and_b32_sdwa v6, v2, s9 dst_sel:DWORD dst_unused:UNUSED_PAD src0_sel:BYTE_3 src1_sel:DWORD
	v_and_b32_e32 v14, 0x7f800000, v2
	v_mov_b32_e32 v15, v11
	v_and_b32_e32 v10, 0x7fffff, v2
	v_or_b32_e32 v3, 0x7e, v6
	v_cmp_ne_u64_e32 vcc, s[6:7], v[14:15]
	s_and_saveexec_b64 s[0:1], vcc
	s_xor_b64 s[12:13], exec, s[0:1]
	s_cbranch_execz .LBB2_59
; %bb.46:                               ;   in Loop: Header=BB2_29 Depth=1
	v_and_b32_e32 v14, 0x7fffffff, v2
	v_mov_b32_e32 v15, v11
	v_cmp_gt_u64_e32 vcc, s[10:11], v[14:15]
	s_and_saveexec_b64 s[0:1], vcc
	s_xor_b64 s[14:15], exec, s[0:1]
	s_cbranch_execz .LBB2_58
; %bb.47:                               ;   in Loop: Header=BB2_29 Depth=1
	v_cmp_ne_u32_e32 vcc, 0, v2
	v_mov_b32_e32 v3, 0
	s_and_saveexec_b64 s[16:17], vcc
	s_cbranch_execz .LBB2_57
; %bb.48:                               ;   in Loop: Header=BB2_29 Depth=1
	v_bfe_u32 v2, v2, 23, 8
	v_sub_u32_e64 v3, s24, v2 clamp
	v_cmp_eq_u32_e32 vcc, 0, v2
	v_cndmask_b32_e32 v23, v3, v20, vcc
	v_add_u32_e32 v22, 0xffffff88, v2
	v_add_u32_e32 v2, 20, v23
	v_or_b32_e32 v7, 0x800000, v10
	v_lshlrev_b64 v[2:3], v2, -1
	v_cndmask_b32_e32 v10, v7, v10, vcc
	v_not_b32_e32 v3, v3
	v_not_b32_e32 v2, v2
	v_add_u32_e32 v7, 19, v23
	v_and_b32_e32 v3, 0, v3
	v_and_b32_e32 v2, v10, v2
	v_lshlrev_b64 v[14:15], v7, 1
	v_cmp_eq_u64_e64 s[0:1], v[2:3], v[14:15]
	v_lshrrev_b64 v[2:3], v23, v[10:11]
	v_cndmask_b32_e32 v7, v22, v21, vcc
	v_lshrrev_b32_e32 v10, 23, v2
	v_add3_u32 v14, v7, v23, v10
	v_and_b32_e32 v10, 0x100000, v2
	v_cmp_eq_u64_e32 vcc, 0, v[10:11]
	s_and_b64 vcc, vcc, s[0:1]
	v_subbrev_co_u32_e32 v7, vcc, 0, v2, vcc
	v_and_b32_e32 v7, 0xfffff, v7
	v_add_co_u32_e32 v2, vcc, v7, v2
	v_add_u32_e32 v15, -1, v14
	v_addc_co_u32_e32 v3, vcc, 0, v3, vcc
	v_cmp_ne_u32_e32 vcc, 0, v15
                                        ; implicit-def: $vgpr7
	s_and_saveexec_b64 s[0:1], vcc
	s_xor_b64 s[0:1], exec, s[0:1]
; %bb.49:                               ;   in Loop: Header=BB2_29 Depth=1
	v_and_b32_e32 v10, 0x1000000, v2
	v_cmp_eq_u64_e32 vcc, 0, v[10:11]
	v_bfe_u32 v10, v2, 24, 1
	v_cndmask_b32_e32 v7, v14, v15, vcc
	v_lshrrev_b64 v[2:3], v10, v[2:3]
; %bb.50:                               ;   in Loop: Header=BB2_29 Depth=1
	s_andn2_saveexec_b64 s[0:1], s[0:1]
; %bb.51:                               ;   in Loop: Header=BB2_29 Depth=1
	v_bfe_u32 v7, v2, 23, 1
; %bb.52:                               ;   in Loop: Header=BB2_29 Depth=1
	s_or_b64 exec, exec, s[0:1]
	v_lshrrev_b64 v[2:3], 20, v[2:3]
	v_cmp_gt_i32_e32 vcc, 16, v7
	v_cndmask_b32_e32 v3, 0, v3, vcc
	v_cndmask_b32_e32 v2, 7, v2, vcc
	v_cmp_ne_u32_e32 vcc, 0, v7
	v_cmp_ne_u64_e64 s[0:1], 0, v[2:3]
	s_or_b64 s[0:1], vcc, s[0:1]
                                        ; implicit-def: $vgpr3
	s_and_saveexec_b64 s[26:27], s[0:1]
	s_xor_b64 s[0:1], exec, s[26:27]
; %bb.53:                               ;   in Loop: Header=BB2_29 Depth=1
	v_min_i32_e32 v3, 15, v7
	v_lshl_or_b32 v3, v3, 3, v6
	v_and_or_b32 v3, v2, 7, v3
                                        ; implicit-def: $vgpr6
; %bb.54:                               ;   in Loop: Header=BB2_29 Depth=1
	s_andn2_saveexec_b64 s[0:1], s[0:1]
; %bb.55:                               ;   in Loop: Header=BB2_29 Depth=1
	v_mov_b32_e32 v3, v6
; %bb.56:                               ;   in Loop: Header=BB2_29 Depth=1
	s_or_b64 exec, exec, s[0:1]
.LBB2_57:                               ;   in Loop: Header=BB2_29 Depth=1
	s_or_b64 exec, exec, s[16:17]
.LBB2_58:                               ;   in Loop: Header=BB2_29 Depth=1
	s_andn2_saveexec_b64 s[0:1], s[14:15]
	s_or_b64 exec, exec, s[0:1]
                                        ; implicit-def: $vgpr2
.LBB2_59:                               ;   in Loop: Header=BB2_29 Depth=1
	s_andn2_saveexec_b64 s[0:1], s[12:13]
; %bb.60:                               ;   in Loop: Header=BB2_29 Depth=1
	v_or_b32_sdwa v2, v2, s25 dst_sel:DWORD dst_unused:UNUSED_PAD src0_sel:BYTE_3 src1_sel:DWORD
	v_cmp_eq_u64_e32 vcc, 0, v[10:11]
	v_cndmask_b32_e32 v3, v2, v3, vcc
; %bb.61:                               ;   in Loop: Header=BB2_29 Depth=1
	s_or_b64 exec, exec, s[0:1]
	v_add_u32_e32 v2, 1, v16
	global_store_byte v2, v3, s[2:3]
	v_mul_f32_e32 v2, v4, v1
	v_mul_f32_e32 v2, v2, v8
	;; [unrolled: 1-line block ×3, first 2 shown]
	v_min_f32_e32 v2, 0x43e00000, v2
	v_max_f32_e32 v2, 0xc3e00000, v2
	v_and_b32_sdwa v4, v2, s9 dst_sel:DWORD dst_unused:UNUSED_PAD src0_sel:BYTE_3 src1_sel:DWORD
	v_and_b32_e32 v6, 0x7f800000, v2
	v_mov_b32_e32 v7, v11
	v_and_b32_e32 v10, 0x7fffff, v2
	v_or_b32_e32 v3, 0x7e, v4
	v_cmp_ne_u64_e32 vcc, s[6:7], v[6:7]
	s_and_saveexec_b64 s[0:1], vcc
	s_xor_b64 s[12:13], exec, s[0:1]
	s_cbranch_execz .LBB2_75
; %bb.62:                               ;   in Loop: Header=BB2_29 Depth=1
	v_and_b32_e32 v6, 0x7fffffff, v2
	v_mov_b32_e32 v7, v11
	v_cmp_gt_u64_e32 vcc, s[10:11], v[6:7]
	s_and_saveexec_b64 s[0:1], vcc
	s_xor_b64 s[14:15], exec, s[0:1]
	s_cbranch_execz .LBB2_74
; %bb.63:                               ;   in Loop: Header=BB2_29 Depth=1
	v_cmp_ne_u32_e32 vcc, 0, v2
	v_mov_b32_e32 v3, 0
	s_and_saveexec_b64 s[16:17], vcc
	s_cbranch_execz .LBB2_73
; %bb.64:                               ;   in Loop: Header=BB2_29 Depth=1
	v_bfe_u32 v2, v2, 23, 8
	v_sub_u32_e64 v3, s24, v2 clamp
	v_cmp_eq_u32_e32 vcc, 0, v2
	v_cndmask_b32_e32 v14, v3, v20, vcc
	v_add_u32_e32 v8, 0xffffff88, v2
	v_add_u32_e32 v2, 20, v14
	v_or_b32_e32 v6, 0x800000, v10
	v_lshlrev_b64 v[2:3], v2, -1
	v_cndmask_b32_e32 v10, v6, v10, vcc
	v_not_b32_e32 v3, v3
	v_not_b32_e32 v2, v2
	v_add_u32_e32 v6, 19, v14
	v_and_b32_e32 v3, 0, v3
	v_and_b32_e32 v2, v10, v2
	v_lshlrev_b64 v[6:7], v6, 1
	v_cmp_eq_u64_e64 s[0:1], v[2:3], v[6:7]
	v_lshrrev_b64 v[2:3], v14, v[10:11]
	v_and_b32_e32 v10, 0x100000, v2
	v_cndmask_b32_e32 v6, v8, v21, vcc
	v_cmp_eq_u64_e32 vcc, 0, v[10:11]
	v_lshrrev_b32_e32 v7, 23, v2
	s_and_b64 vcc, vcc, s[0:1]
	v_add3_u32 v7, v6, v14, v7
	v_subbrev_co_u32_e32 v6, vcc, 0, v2, vcc
	v_and_b32_e32 v6, 0xfffff, v6
	v_add_co_u32_e32 v2, vcc, v6, v2
	v_add_u32_e32 v8, -1, v7
	v_addc_co_u32_e32 v3, vcc, 0, v3, vcc
	v_cmp_ne_u32_e32 vcc, 0, v8
                                        ; implicit-def: $vgpr6
	s_and_saveexec_b64 s[0:1], vcc
	s_xor_b64 s[0:1], exec, s[0:1]
; %bb.65:                               ;   in Loop: Header=BB2_29 Depth=1
	v_and_b32_e32 v10, 0x1000000, v2
	v_cmp_eq_u64_e32 vcc, 0, v[10:11]
	v_cndmask_b32_e32 v6, v7, v8, vcc
	v_bfe_u32 v7, v2, 24, 1
	v_lshrrev_b64 v[2:3], v7, v[2:3]
; %bb.66:                               ;   in Loop: Header=BB2_29 Depth=1
	s_andn2_saveexec_b64 s[0:1], s[0:1]
; %bb.67:                               ;   in Loop: Header=BB2_29 Depth=1
	v_bfe_u32 v6, v2, 23, 1
; %bb.68:                               ;   in Loop: Header=BB2_29 Depth=1
	s_or_b64 exec, exec, s[0:1]
	v_lshrrev_b64 v[2:3], 20, v[2:3]
	v_cmp_gt_i32_e32 vcc, 16, v6
	v_cndmask_b32_e32 v3, 0, v3, vcc
	v_cndmask_b32_e32 v2, 7, v2, vcc
	v_cmp_ne_u32_e32 vcc, 0, v6
	v_cmp_ne_u64_e64 s[0:1], 0, v[2:3]
	s_or_b64 s[0:1], vcc, s[0:1]
                                        ; implicit-def: $vgpr3
	s_and_saveexec_b64 s[26:27], s[0:1]
	s_xor_b64 s[0:1], exec, s[26:27]
; %bb.69:                               ;   in Loop: Header=BB2_29 Depth=1
	v_min_i32_e32 v3, 15, v6
	v_lshl_or_b32 v3, v3, 3, v4
	v_and_or_b32 v3, v2, 7, v3
                                        ; implicit-def: $vgpr4
; %bb.70:                               ;   in Loop: Header=BB2_29 Depth=1
	s_andn2_saveexec_b64 s[0:1], s[0:1]
; %bb.71:                               ;   in Loop: Header=BB2_29 Depth=1
	v_mov_b32_e32 v3, v4
; %bb.72:                               ;   in Loop: Header=BB2_29 Depth=1
	s_or_b64 exec, exec, s[0:1]
.LBB2_73:                               ;   in Loop: Header=BB2_29 Depth=1
	s_or_b64 exec, exec, s[16:17]
.LBB2_74:                               ;   in Loop: Header=BB2_29 Depth=1
	s_andn2_saveexec_b64 s[0:1], s[14:15]
	s_or_b64 exec, exec, s[0:1]
                                        ; implicit-def: $vgpr2
.LBB2_75:                               ;   in Loop: Header=BB2_29 Depth=1
	s_andn2_saveexec_b64 s[0:1], s[12:13]
; %bb.76:                               ;   in Loop: Header=BB2_29 Depth=1
	v_or_b32_sdwa v2, v2, s25 dst_sel:DWORD dst_unused:UNUSED_PAD src0_sel:BYTE_3 src1_sel:DWORD
	v_cmp_eq_u64_e32 vcc, 0, v[10:11]
	v_cndmask_b32_e32 v3, v2, v3, vcc
; %bb.77:                               ;   in Loop: Header=BB2_29 Depth=1
	s_or_b64 exec, exec, s[0:1]
	v_add_u32_e32 v2, 2, v16
	global_store_byte v2, v3, s[2:3]
	v_mul_f32_e32 v2, v5, v1
	v_mul_f32_e32 v2, v2, v9
	;; [unrolled: 1-line block ×3, first 2 shown]
	v_min_f32_e32 v2, 0x43e00000, v2
	v_max_f32_e32 v2, 0xc3e00000, v2
	v_and_b32_sdwa v4, v2, s9 dst_sel:DWORD dst_unused:UNUSED_PAD src0_sel:BYTE_3 src1_sel:DWORD
	v_and_b32_e32 v6, 0x7f800000, v2
	v_mov_b32_e32 v7, v11
	v_and_b32_e32 v10, 0x7fffff, v2
	v_or_b32_e32 v3, 0x7e, v4
	v_cmp_ne_u64_e32 vcc, s[6:7], v[6:7]
	s_and_saveexec_b64 s[0:1], vcc
	s_xor_b64 s[12:13], exec, s[0:1]
	s_cbranch_execz .LBB2_91
; %bb.78:                               ;   in Loop: Header=BB2_29 Depth=1
	v_and_b32_e32 v6, 0x7fffffff, v2
	v_mov_b32_e32 v7, v11
	v_cmp_gt_u64_e32 vcc, s[10:11], v[6:7]
	s_and_saveexec_b64 s[0:1], vcc
	s_xor_b64 s[14:15], exec, s[0:1]
	s_cbranch_execz .LBB2_90
; %bb.79:                               ;   in Loop: Header=BB2_29 Depth=1
	v_cmp_ne_u32_e32 vcc, 0, v2
	v_mov_b32_e32 v3, 0
	s_and_saveexec_b64 s[16:17], vcc
	s_cbranch_execz .LBB2_89
; %bb.80:                               ;   in Loop: Header=BB2_29 Depth=1
	v_bfe_u32 v2, v2, 23, 8
	v_sub_u32_e64 v3, s24, v2 clamp
	v_cmp_eq_u32_e32 vcc, 0, v2
	v_cndmask_b32_e32 v9, v3, v20, vcc
	v_add_u32_e32 v8, 0xffffff88, v2
	v_add_u32_e32 v2, 20, v9
	v_or_b32_e32 v5, 0x800000, v10
	v_lshlrev_b64 v[2:3], v2, -1
	v_cndmask_b32_e32 v10, v5, v10, vcc
	v_not_b32_e32 v3, v3
	v_not_b32_e32 v2, v2
	v_add_u32_e32 v5, 19, v9
	v_and_b32_e32 v3, 0, v3
	v_and_b32_e32 v2, v10, v2
	v_lshlrev_b64 v[6:7], v5, 1
	v_cmp_eq_u64_e64 s[0:1], v[2:3], v[6:7]
	v_lshrrev_b64 v[2:3], v9, v[10:11]
	v_and_b32_e32 v10, 0x100000, v2
	v_cndmask_b32_e32 v5, v8, v21, vcc
	v_cmp_eq_u64_e32 vcc, 0, v[10:11]
	v_lshrrev_b32_e32 v6, 23, v2
	s_and_b64 vcc, vcc, s[0:1]
	v_add3_u32 v6, v5, v9, v6
	v_subbrev_co_u32_e32 v5, vcc, 0, v2, vcc
	v_and_b32_e32 v5, 0xfffff, v5
	v_add_co_u32_e32 v2, vcc, v5, v2
	v_add_u32_e32 v7, -1, v6
	v_addc_co_u32_e32 v3, vcc, 0, v3, vcc
	v_cmp_ne_u32_e32 vcc, 0, v7
                                        ; implicit-def: $vgpr5
	s_and_saveexec_b64 s[0:1], vcc
	s_xor_b64 s[0:1], exec, s[0:1]
; %bb.81:                               ;   in Loop: Header=BB2_29 Depth=1
	v_and_b32_e32 v10, 0x1000000, v2
	v_cmp_eq_u64_e32 vcc, 0, v[10:11]
	v_cndmask_b32_e32 v5, v6, v7, vcc
	v_bfe_u32 v6, v2, 24, 1
	v_lshrrev_b64 v[2:3], v6, v[2:3]
; %bb.82:                               ;   in Loop: Header=BB2_29 Depth=1
	s_andn2_saveexec_b64 s[0:1], s[0:1]
; %bb.83:                               ;   in Loop: Header=BB2_29 Depth=1
	v_bfe_u32 v5, v2, 23, 1
; %bb.84:                               ;   in Loop: Header=BB2_29 Depth=1
	s_or_b64 exec, exec, s[0:1]
	v_lshrrev_b64 v[2:3], 20, v[2:3]
	v_cmp_gt_i32_e32 vcc, 16, v5
	v_cndmask_b32_e32 v3, 0, v3, vcc
	v_cndmask_b32_e32 v2, 7, v2, vcc
	v_cmp_ne_u32_e32 vcc, 0, v5
	v_cmp_ne_u64_e64 s[0:1], 0, v[2:3]
	s_or_b64 s[0:1], vcc, s[0:1]
                                        ; implicit-def: $vgpr3
	s_and_saveexec_b64 s[26:27], s[0:1]
	s_xor_b64 s[0:1], exec, s[26:27]
; %bb.85:                               ;   in Loop: Header=BB2_29 Depth=1
	v_min_i32_e32 v3, 15, v5
	v_lshl_or_b32 v3, v3, 3, v4
	v_and_or_b32 v3, v2, 7, v3
                                        ; implicit-def: $vgpr4
; %bb.86:                               ;   in Loop: Header=BB2_29 Depth=1
	s_andn2_saveexec_b64 s[0:1], s[0:1]
; %bb.87:                               ;   in Loop: Header=BB2_29 Depth=1
	v_mov_b32_e32 v3, v4
; %bb.88:                               ;   in Loop: Header=BB2_29 Depth=1
	s_or_b64 exec, exec, s[0:1]
.LBB2_89:                               ;   in Loop: Header=BB2_29 Depth=1
	s_or_b64 exec, exec, s[16:17]
.LBB2_90:                               ;   in Loop: Header=BB2_29 Depth=1
	s_andn2_saveexec_b64 s[0:1], s[14:15]
	s_or_b64 exec, exec, s[0:1]
                                        ; implicit-def: $vgpr2
.LBB2_91:                               ;   in Loop: Header=BB2_29 Depth=1
	s_andn2_saveexec_b64 s[0:1], s[12:13]
	s_cbranch_execz .LBB2_28
; %bb.92:                               ;   in Loop: Header=BB2_29 Depth=1
	v_or_b32_sdwa v2, v2, s25 dst_sel:DWORD dst_unused:UNUSED_PAD src0_sel:BYTE_3 src1_sel:DWORD
	v_cmp_eq_u64_e32 vcc, 0, v[10:11]
	v_cndmask_b32_e32 v3, v2, v3, vcc
	s_branch .LBB2_28
.LBB2_93:
	s_endpgm
	.section	.rodata,"a",@progbits
	.p2align	6, 0x0
	.amdhsa_kernel _ZN4vllm32rms_norm_static_fp8_quant_kernelIfN3c1013Float8_e4m3fnELi4EEEvPT0_PKT_iS7_PKffii
		.amdhsa_group_segment_fixed_size 68
		.amdhsa_private_segment_fixed_size 0
		.amdhsa_kernarg_size 312
		.amdhsa_user_sgpr_count 6
		.amdhsa_user_sgpr_private_segment_buffer 1
		.amdhsa_user_sgpr_dispatch_ptr 0
		.amdhsa_user_sgpr_queue_ptr 0
		.amdhsa_user_sgpr_kernarg_segment_ptr 1
		.amdhsa_user_sgpr_dispatch_id 0
		.amdhsa_user_sgpr_flat_scratch_init 0
		.amdhsa_user_sgpr_kernarg_preload_length 0
		.amdhsa_user_sgpr_kernarg_preload_offset 0
		.amdhsa_user_sgpr_private_segment_size 0
		.amdhsa_uses_dynamic_stack 0
		.amdhsa_system_sgpr_private_segment_wavefront_offset 0
		.amdhsa_system_sgpr_workgroup_id_x 1
		.amdhsa_system_sgpr_workgroup_id_y 0
		.amdhsa_system_sgpr_workgroup_id_z 0
		.amdhsa_system_sgpr_workgroup_info 0
		.amdhsa_system_vgpr_workitem_id 0
		.amdhsa_next_free_vgpr 25
		.amdhsa_next_free_sgpr 28
		.amdhsa_accum_offset 28
		.amdhsa_reserve_vcc 1
		.amdhsa_reserve_flat_scratch 0
		.amdhsa_float_round_mode_32 0
		.amdhsa_float_round_mode_16_64 0
		.amdhsa_float_denorm_mode_32 3
		.amdhsa_float_denorm_mode_16_64 3
		.amdhsa_dx10_clamp 1
		.amdhsa_ieee_mode 1
		.amdhsa_fp16_overflow 0
		.amdhsa_tg_split 0
		.amdhsa_exception_fp_ieee_invalid_op 0
		.amdhsa_exception_fp_denorm_src 0
		.amdhsa_exception_fp_ieee_div_zero 0
		.amdhsa_exception_fp_ieee_overflow 0
		.amdhsa_exception_fp_ieee_underflow 0
		.amdhsa_exception_fp_ieee_inexact 0
		.amdhsa_exception_int_div_zero 0
	.end_amdhsa_kernel
	.section	.text._ZN4vllm32rms_norm_static_fp8_quant_kernelIfN3c1013Float8_e4m3fnELi4EEEvPT0_PKT_iS7_PKffii,"axG",@progbits,_ZN4vllm32rms_norm_static_fp8_quant_kernelIfN3c1013Float8_e4m3fnELi4EEEvPT0_PKT_iS7_PKffii,comdat
.Lfunc_end2:
	.size	_ZN4vllm32rms_norm_static_fp8_quant_kernelIfN3c1013Float8_e4m3fnELi4EEEvPT0_PKT_iS7_PKffii, .Lfunc_end2-_ZN4vllm32rms_norm_static_fp8_quant_kernelIfN3c1013Float8_e4m3fnELi4EEEvPT0_PKT_iS7_PKffii
                                        ; -- End function
	.section	.AMDGPU.csdata,"",@progbits
; Kernel info:
; codeLenInByte = 3680
; NumSgprs: 32
; NumVgprs: 25
; NumAgprs: 0
; TotalNumVgprs: 25
; ScratchSize: 0
; MemoryBound: 0
; FloatMode: 240
; IeeeMode: 1
; LDSByteSize: 68 bytes/workgroup (compile time only)
; SGPRBlocks: 3
; VGPRBlocks: 3
; NumSGPRsForWavesPerEU: 32
; NumVGPRsForWavesPerEU: 25
; AccumOffset: 28
; Occupancy: 8
; WaveLimiterHint : 0
; COMPUTE_PGM_RSRC2:SCRATCH_EN: 0
; COMPUTE_PGM_RSRC2:USER_SGPR: 6
; COMPUTE_PGM_RSRC2:TRAP_HANDLER: 0
; COMPUTE_PGM_RSRC2:TGID_X_EN: 1
; COMPUTE_PGM_RSRC2:TGID_Y_EN: 0
; COMPUTE_PGM_RSRC2:TGID_Z_EN: 0
; COMPUTE_PGM_RSRC2:TIDIG_COMP_CNT: 0
; COMPUTE_PGM_RSRC3_GFX90A:ACCUM_OFFSET: 6
; COMPUTE_PGM_RSRC3_GFX90A:TG_SPLIT: 0
	.section	.text._ZN4vllm32rms_norm_static_fp8_quant_kernelIfN3c1013Float8_e4m3fnELi2EEEvPT0_PKT_iS7_PKffii,"axG",@progbits,_ZN4vllm32rms_norm_static_fp8_quant_kernelIfN3c1013Float8_e4m3fnELi2EEEvPT0_PKT_iS7_PKffii,comdat
	.protected	_ZN4vllm32rms_norm_static_fp8_quant_kernelIfN3c1013Float8_e4m3fnELi2EEEvPT0_PKT_iS7_PKffii ; -- Begin function _ZN4vllm32rms_norm_static_fp8_quant_kernelIfN3c1013Float8_e4m3fnELi2EEEvPT0_PKT_iS7_PKffii
	.globl	_ZN4vllm32rms_norm_static_fp8_quant_kernelIfN3c1013Float8_e4m3fnELi2EEEvPT0_PKT_iS7_PKffii
	.p2align	8
	.type	_ZN4vllm32rms_norm_static_fp8_quant_kernelIfN3c1013Float8_e4m3fnELi2EEEvPT0_PKT_iS7_PKffii,@function
_ZN4vllm32rms_norm_static_fp8_quant_kernelIfN3c1013Float8_e4m3fnELi2EEEvPT0_PKT_iS7_PKffii: ; @_ZN4vllm32rms_norm_static_fp8_quant_kernelIfN3c1013Float8_e4m3fnELi2EEEvPT0_PKT_iS7_PKffii
; %bb.0:
	s_load_dword s2, s[4:5], 0x10
	s_load_dwordx2 s[0:1], s[4:5], 0x8
	s_load_dword s7, s[4:5], 0x30
	s_load_dword s12, s[4:5], 0x44
	s_mov_b32 s11, 0
	s_waitcnt lgkmcnt(0)
	s_mul_i32 s10, s6, s2
	s_lshl_b64 s[8:9], s[10:11], 2
	s_add_u32 s2, s0, s8
	s_addc_u32 s3, s1, s9
	s_and_b32 s20, s12, 0xffff
	s_and_b32 s10, s2, 7
	s_cmp_lg_u64 s[10:11], 0
	s_cselect_b64 s[10:11], -1, 0
	s_bitcmp1_b32 s7, 0
	s_cselect_b64 s[12:13], -1, 0
	s_or_b64 s[10:11], s[10:11], s[12:13]
	s_and_b64 vcc, exec, s[10:11]
	s_cbranch_vccz .LBB3_13
; %bb.1:
	s_sub_i32 s10, 0, s2
	s_bfe_u32 s10, s10, 0x10002
	s_min_i32 s10, s10, s7
	v_cmp_gt_i32_e32 vcc, s10, v0
	v_mov_b32_e32 v1, 0
	s_and_saveexec_b64 s[12:13], vcc
	s_cbranch_execz .LBB3_4
; %bb.2:
	s_lshl_b32 s11, s20, 2
	s_mov_b32 s16, 0
	v_mov_b32_e32 v1, 0
	s_mov_b64 s[14:15], s[2:3]
.LBB3_3:                                ; =>This Inner Loop Header: Depth=1
	s_load_dword s17, s[14:15], 0x0
	s_add_i32 s16, s16, s20
	s_add_u32 s14, s14, s11
	s_addc_u32 s15, s15, 0
	s_cmp_ge_i32 s16, s10
	s_waitcnt lgkmcnt(0)
	v_fmac_f32_e64 v1, s17, s17
	s_cbranch_scc0 .LBB3_3
.LBB3_4:
	s_or_b64 exec, exec, s[12:13]
	s_sub_i32 s16, s7, s10
	s_lshr_b32 s12, s16, 31
	s_add_i32 s12, s16, s12
	s_ashr_i32 s17, s12, 1
	s_ashr_i32 s11, s10, 31
	v_cmp_gt_i32_e32 vcc, s17, v0
	s_and_saveexec_b64 s[12:13], vcc
	s_cbranch_execz .LBB3_8
; %bb.5:
	s_lshl_b64 s[14:15], s[10:11], 2
	s_add_u32 s18, s0, s8
	s_addc_u32 s21, s1, s9
	s_add_u32 s14, s18, s14
	v_lshlrev_b32_e32 v2, 3, v0
	s_addc_u32 s15, s21, s15
	v_mov_b32_e32 v3, s15
	v_add_co_u32_e32 v2, vcc, s14, v2
	v_addc_co_u32_e32 v3, vcc, 0, v3, vcc
	s_mov_b32 s19, 0
	v_add_co_u32_e32 v2, vcc, 4, v2
	v_addc_co_u32_e32 v3, vcc, 0, v3, vcc
	s_lshl_b32 s18, s20, 3
	s_mov_b64 s[14:15], 0
	v_mov_b32_e32 v4, s19
	v_mov_b32_e32 v5, v0
.LBB3_6:                                ; =>This Inner Loop Header: Depth=1
	global_load_dwordx2 v[6:7], v[2:3], off offset:-4
	v_add_co_u32_e32 v2, vcc, s18, v2
	v_add_u32_e32 v5, s20, v5
	v_addc_co_u32_e32 v3, vcc, v3, v4, vcc
	v_cmp_le_i32_e32 vcc, s17, v5
	s_or_b64 s[14:15], vcc, s[14:15]
	s_waitcnt vmcnt(0)
	v_fmac_f32_e32 v1, v6, v6
	v_fmac_f32_e32 v1, v7, v7
	s_andn2_b64 exec, exec, s[14:15]
	s_cbranch_execnz .LBB3_6
; %bb.7:
	s_or_b64 exec, exec, s[14:15]
.LBB3_8:
	s_or_b64 exec, exec, s[12:13]
	v_lshl_add_u32 v2, s17, 1, v0
	v_cmp_gt_i32_e32 vcc, s16, v2
	s_and_saveexec_b64 s[12:13], vcc
	s_cbranch_execz .LBB3_12
; %bb.9:
	s_lshl_b64 s[10:11], s[10:11], 2
	s_add_u32 s14, s0, s8
	s_addc_u32 s15, s1, s9
	v_ashrrev_i32_e32 v3, 31, v2
	s_add_u32 s10, s14, s10
	v_lshlrev_b64 v[4:5], 2, v[2:3]
	s_addc_u32 s11, s15, s11
	v_mov_b32_e32 v3, s11
	v_add_co_u32_e32 v4, vcc, s10, v4
	s_mov_b32 s15, 0
	v_addc_co_u32_e32 v5, vcc, v3, v5, vcc
	s_lshl_b32 s14, s20, 2
	s_mov_b64 s[10:11], 0
	v_mov_b32_e32 v3, s15
.LBB3_10:                               ; =>This Inner Loop Header: Depth=1
	global_load_dword v6, v[4:5], off
	v_add_co_u32_e32 v4, vcc, s14, v4
	v_add_u32_e32 v2, s20, v2
	v_addc_co_u32_e32 v5, vcc, v5, v3, vcc
	v_cmp_le_i32_e32 vcc, s16, v2
	s_or_b64 s[10:11], vcc, s[10:11]
	s_waitcnt vmcnt(0)
	v_fmac_f32_e32 v1, v6, v6
	s_andn2_b64 exec, exec, s[10:11]
	s_cbranch_execnz .LBB3_10
; %bb.11:
	s_or_b64 exec, exec, s[10:11]
.LBB3_12:
	s_or_b64 exec, exec, s[12:13]
	s_branch .LBB3_19
.LBB3_13:
                                        ; implicit-def: $vgpr1
	s_cbranch_execz .LBB3_19
; %bb.14:
	s_ashr_i32 s12, s7, 1
	v_cmp_gt_i32_e32 vcc, s12, v0
	v_mov_b32_e32 v1, 0
	s_and_saveexec_b64 s[10:11], vcc
	s_cbranch_execz .LBB3_18
; %bb.15:
	s_add_u32 s0, s0, s8
	v_lshlrev_b32_e32 v1, 3, v0
	s_addc_u32 s1, s1, s9
	v_mov_b32_e32 v2, s1
	v_add_co_u32_e32 v1, vcc, s0, v1
	v_addc_co_u32_e32 v3, vcc, 0, v2, vcc
	s_mov_b32 s13, 0
	v_add_co_u32_e32 v2, vcc, 4, v1
	v_addc_co_u32_e32 v3, vcc, 0, v3, vcc
	s_lshl_b32 s8, s20, 3
	s_mov_b64 s[0:1], 0
	v_mov_b32_e32 v1, 0
	v_mov_b32_e32 v4, s13
	;; [unrolled: 1-line block ×3, first 2 shown]
.LBB3_16:                               ; =>This Inner Loop Header: Depth=1
	global_load_dwordx2 v[6:7], v[2:3], off offset:-4
	v_add_co_u32_e32 v2, vcc, s8, v2
	v_add_u32_e32 v5, s20, v5
	v_addc_co_u32_e32 v3, vcc, v3, v4, vcc
	v_cmp_le_i32_e32 vcc, s12, v5
	s_or_b64 s[0:1], vcc, s[0:1]
	s_waitcnt vmcnt(0)
	v_fmac_f32_e32 v1, v6, v6
	v_fmac_f32_e32 v1, v7, v7
	s_andn2_b64 exec, exec, s[0:1]
	s_cbranch_execnz .LBB3_16
; %bb.17:
	s_or_b64 exec, exec, s[0:1]
.LBB3_18:
	s_or_b64 exec, exec, s[10:11]
.LBB3_19:
	v_mbcnt_lo_u32_b32 v2, -1, 0
	v_mbcnt_hi_u32_b32 v2, -1, v2
	v_and_b32_e32 v3, 63, v2
	v_cmp_ne_u32_e32 vcc, 63, v3
	v_addc_co_u32_e32 v4, vcc, 0, v2, vcc
	v_lshlrev_b32_e32 v4, 2, v4
	ds_bpermute_b32 v4, v4, v1
	v_and_b32_e32 v5, 0x3c0, v0
	v_sub_u32_e64 v5, s20, v5 clamp
	v_add_u32_e32 v6, 1, v2
	v_cmp_lt_u32_e32 vcc, v6, v5
	s_waitcnt lgkmcnt(0)
	v_add_f32_e32 v4, v1, v4
	v_cndmask_b32_e32 v1, v1, v4, vcc
	v_cmp_gt_u32_e32 vcc, 62, v3
	v_cndmask_b32_e64 v4, 0, 1, vcc
	v_lshlrev_b32_e32 v4, 1, v4
	v_add_lshl_u32 v4, v4, v2, 2
	ds_bpermute_b32 v4, v4, v1
	v_add_u32_e32 v6, 2, v2
	v_cmp_lt_u32_e32 vcc, v6, v5
	v_add_u32_e32 v6, 4, v2
	s_waitcnt lgkmcnt(0)
	v_add_f32_e32 v4, v1, v4
	v_cndmask_b32_e32 v1, v1, v4, vcc
	v_cmp_gt_u32_e32 vcc, 60, v3
	v_cndmask_b32_e64 v4, 0, 1, vcc
	v_lshlrev_b32_e32 v4, 2, v4
	v_add_lshl_u32 v4, v4, v2, 2
	ds_bpermute_b32 v4, v4, v1
	v_cmp_lt_u32_e32 vcc, v6, v5
	v_add_u32_e32 v6, 8, v2
	s_waitcnt lgkmcnt(0)
	v_add_f32_e32 v4, v1, v4
	v_cndmask_b32_e32 v1, v1, v4, vcc
	v_cmp_gt_u32_e32 vcc, 56, v3
	v_cndmask_b32_e64 v4, 0, 1, vcc
	v_lshlrev_b32_e32 v4, 3, v4
	v_add_lshl_u32 v4, v4, v2, 2
	ds_bpermute_b32 v4, v4, v1
	v_cmp_lt_u32_e32 vcc, v6, v5
	v_add_u32_e32 v6, 16, v2
	s_waitcnt lgkmcnt(0)
	v_add_f32_e32 v4, v1, v4
	v_cndmask_b32_e32 v1, v1, v4, vcc
	v_cmp_gt_u32_e32 vcc, 48, v3
	v_cndmask_b32_e64 v4, 0, 1, vcc
	v_lshlrev_b32_e32 v4, 4, v4
	v_add_lshl_u32 v4, v4, v2, 2
	ds_bpermute_b32 v4, v4, v1
	v_cmp_lt_u32_e32 vcc, v6, v5
	s_waitcnt lgkmcnt(0)
	v_add_f32_e32 v4, v1, v4
	v_cndmask_b32_e32 v1, v1, v4, vcc
	v_cmp_gt_u32_e32 vcc, 32, v3
	v_cndmask_b32_e64 v3, 0, 1, vcc
	v_lshlrev_b32_e32 v3, 5, v3
	v_add_lshl_u32 v3, v3, v2, 2
	ds_bpermute_b32 v3, v3, v1
	v_add_u32_e32 v4, 32, v2
	v_cmp_lt_u32_e32 vcc, v4, v5
	s_waitcnt lgkmcnt(0)
	v_add_f32_e32 v3, v1, v3
	v_cndmask_b32_e32 v1, v1, v3, vcc
	v_cmp_eq_u32_e32 vcc, 0, v2
	s_and_saveexec_b64 s[0:1], vcc
	s_cbranch_execz .LBB3_21
; %bb.20:
	v_lshrrev_b32_e32 v3, 4, v0
	v_and_b32_e32 v3, 60, v3
	ds_write_b32 v3, v1
.LBB3_21:
	s_or_b64 exec, exec, s[0:1]
	v_cmp_gt_u32_e32 vcc, 16, v0
	s_waitcnt lgkmcnt(0)
	s_barrier
	s_and_saveexec_b64 s[8:9], vcc
	s_cbranch_execz .LBB3_23
; %bb.22:
	v_lshlrev_b32_e32 v1, 2, v2
	ds_read_b32 v1, v1
	v_and_b32_e32 v3, 15, v2
	v_cmp_ne_u32_e32 vcc, 15, v3
	v_addc_co_u32_e32 v4, vcc, 0, v2, vcc
	v_lshlrev_b32_e32 v4, 2, v4
	s_waitcnt lgkmcnt(0)
	ds_bpermute_b32 v4, v4, v1
	s_add_i32 s0, s20, 63
	s_lshr_b32 s10, s0, 6
	v_add_u32_e32 v5, 1, v3
	v_cmp_gt_u32_e64 s[0:1], 14, v3
	v_cmp_gt_u32_e32 vcc, s10, v5
	v_cndmask_b32_e64 v5, 0, 1, s[0:1]
	s_waitcnt lgkmcnt(0)
	v_add_f32_e32 v4, v1, v4
	v_lshlrev_b32_e32 v5, 1, v5
	v_cndmask_b32_e32 v4, v1, v4, vcc
	v_add_lshl_u32 v5, v5, v2, 2
	ds_bpermute_b32 v5, v5, v4
	v_add_u32_e32 v6, 2, v3
	v_cmp_gt_u32_e64 s[0:1], s10, v6
	v_add_u32_e32 v6, 4, v3
	s_waitcnt lgkmcnt(0)
	v_add_f32_e32 v5, v4, v5
	v_cndmask_b32_e64 v4, v4, v5, s[0:1]
	v_cmp_gt_u32_e64 s[0:1], 12, v3
	v_cndmask_b32_e64 v5, 0, 1, s[0:1]
	v_lshlrev_b32_e32 v5, 2, v5
	v_add_lshl_u32 v5, v5, v2, 2
	ds_bpermute_b32 v5, v5, v4
	v_cmp_gt_u32_e64 s[0:1], s10, v6
	s_waitcnt lgkmcnt(0)
	v_add_f32_e32 v5, v4, v5
	v_cndmask_b32_e64 v4, v4, v5, s[0:1]
	v_cmp_gt_u32_e64 s[0:1], 8, v3
	v_cndmask_b32_e64 v5, 0, 1, s[0:1]
	v_lshlrev_b32_e32 v5, 3, v5
	v_add_lshl_u32 v2, v5, v2, 2
	ds_bpermute_b32 v2, v2, v4
	v_add_u32_e32 v3, 8, v3
	v_cmp_gt_u32_e64 s[0:1], s10, v3
	s_waitcnt lgkmcnt(0)
	v_add_f32_e32 v2, v4, v2
	v_cndmask_b32_e64 v2, v4, v2, s[0:1]
	v_cndmask_b32_e32 v1, v1, v2, vcc
.LBB3_23:
	s_or_b64 exec, exec, s[8:9]
	v_cmp_eq_u32_e32 vcc, 0, v0
	s_and_saveexec_b64 s[0:1], vcc
	s_cbranch_execz .LBB3_25
; %bb.24:
	v_cvt_f32_i32_e32 v2, s7
	s_load_dword s10, s[4:5], 0x28
	v_div_scale_f32 v3, s[8:9], v2, v2, v1
	v_rcp_f32_e32 v4, v3
	v_div_scale_f32 v5, vcc, v1, v2, v1
	s_mov_b32 s8, 0x800000
	v_fma_f32 v6, -v3, v4, 1.0
	v_fmac_f32_e32 v4, v6, v4
	v_mul_f32_e32 v6, v5, v4
	v_fma_f32 v7, -v3, v6, v5
	v_fmac_f32_e32 v6, v7, v4
	v_fma_f32 v3, -v3, v6, v5
	v_div_fmas_f32 v3, v3, v4, v6
	v_div_fixup_f32 v1, v3, v2, v1
	s_waitcnt lgkmcnt(0)
	v_add_f32_e32 v1, s10, v1
	v_mul_f32_e32 v2, 0x4b800000, v1
	v_cmp_gt_f32_e32 vcc, s8, v1
	v_cndmask_b32_e32 v1, v1, v2, vcc
	v_rsq_f32_e32 v1, v1
	v_mul_f32_e32 v2, 0x45800000, v1
	v_cndmask_b32_e32 v1, v1, v2, vcc
	v_mov_b32_e32 v2, 0
	ds_write_b32 v2, v1 offset:64
.LBB3_25:
	s_or_b64 exec, exec, s[0:1]
	s_lshr_b32 s0, s7, 31
	s_add_i32 s0, s7, s0
	s_ashr_i32 s21, s0, 1
	v_cmp_gt_i32_e32 vcc, s21, v0
	s_waitcnt lgkmcnt(0)
	s_barrier
	s_and_saveexec_b64 s[0:1], vcc
	s_cbranch_execz .LBB3_60
; %bb.26:
	s_load_dwordx4 s[8:11], s[4:5], 0x18
	s_load_dwordx2 s[12:13], s[4:5], 0x0
	v_mov_b32_e32 v3, 0
	ds_read_b32 v1, v3 offset:64
	s_mul_i32 s6, s6, s7
	s_waitcnt lgkmcnt(0)
	s_load_dword s4, s[10:11], 0x0
	v_lshl_or_b32 v2, v0, 3, 4
	s_lshl_b32 s22, s20, 1
	v_lshl_add_u32 v12, v0, 1, s6
	s_lshl_b32 s23, s20, 3
	s_waitcnt lgkmcnt(0)
	v_div_scale_f32 v4, s[0:1], s4, s4, 1.0
	v_rcp_f32_e32 v5, v4
	v_div_scale_f32 v6, vcc, 1.0, s4, 1.0
	s_mov_b32 s24, 0
	v_fma_f32 v7, -v4, v5, 1.0
	v_fmac_f32_e32 v5, v7, v5
	v_mul_f32_e32 v7, v6, v5
	v_fma_f32 v8, -v4, v7, v6
	v_fmac_f32_e32 v7, v8, v5
	v_fma_f32 v4, -v4, v7, v6
	v_div_fmas_f32 v4, v4, v5, v7
	v_div_fixup_f32 v13, v4, s4, 1.0
	s_mov_b64 s[4:5], 0
	v_mov_b32_e32 v14, s3
	v_mov_b32_e32 v15, s9
	s_movk_i32 s3, 0x80
	s_mov_b64 s[6:7], 0x7f800000
	s_mov_b64 s[10:11], 0x43e00001
	s_movk_i32 s9, 0x79
	s_movk_i32 s25, 0x7f
	v_mov_b32_e32 v16, 0x78
	v_mov_b32_e32 v17, 0xffffff89
	v_pk_mov_b32 v[4:5], v[2:3], v[2:3] op_sel:[0,1]
	s_branch .LBB3_28
.LBB3_27:                               ;   in Loop: Header=BB3_28 Depth=1
	s_or_b64 exec, exec, s[0:1]
	v_add_u32_e32 v0, s20, v0
	v_add_u32_e32 v2, 1, v12
	v_cmp_le_i32_e32 vcc, s21, v0
	global_store_byte v2, v7, s[12:13]
	v_mov_b32_e32 v2, s24
	s_or_b64 s[4:5], vcc, s[4:5]
	v_add_co_u32_e32 v4, vcc, s23, v4
	v_add_u32_e32 v12, s22, v12
	v_addc_co_u32_e32 v5, vcc, v5, v2, vcc
	s_andn2_b64 exec, exec, s[4:5]
	s_cbranch_execz .LBB3_60
.LBB3_28:                               ; =>This Inner Loop Header: Depth=1
	v_add_co_u32_e32 v6, vcc, s2, v4
	v_addc_co_u32_e32 v7, vcc, v14, v5, vcc
	v_add_co_u32_e32 v8, vcc, s8, v4
	global_load_dwordx2 v[6:7], v[6:7], off offset:-4
	v_addc_co_u32_e32 v9, vcc, v15, v5, vcc
	global_load_dwordx2 v[8:9], v[8:9], off offset:-4
	v_mov_b32_e32 v19, v3
	s_waitcnt vmcnt(1)
	v_mul_f32_e32 v2, v6, v1
	s_waitcnt vmcnt(0)
	v_mul_f32_e32 v2, v2, v8
	v_mul_f32_e32 v2, v13, v2
	v_min_f32_e32 v2, 0x43e00000, v2
	v_max_f32_e32 v10, 0xc3e00000, v2
	v_and_b32_sdwa v6, v10, s3 dst_sel:DWORD dst_unused:UNUSED_PAD src0_sel:BYTE_3 src1_sel:DWORD
	v_and_b32_e32 v18, 0x7f800000, v10
	v_and_b32_e32 v2, 0x7fffff, v10
	v_or_b32_e32 v8, 0x7e, v6
	v_cmp_ne_u64_e32 vcc, s[6:7], v[18:19]
	s_and_saveexec_b64 s[0:1], vcc
	s_xor_b64 s[14:15], exec, s[0:1]
	s_cbranch_execz .LBB3_42
; %bb.29:                               ;   in Loop: Header=BB3_28 Depth=1
	v_and_b32_e32 v18, 0x7fffffff, v10
	v_mov_b32_e32 v19, v3
	v_cmp_gt_u64_e32 vcc, s[10:11], v[18:19]
	s_and_saveexec_b64 s[0:1], vcc
	s_xor_b64 s[16:17], exec, s[0:1]
	s_cbranch_execz .LBB3_41
; %bb.30:                               ;   in Loop: Header=BB3_28 Depth=1
	v_cmp_ne_u32_e32 vcc, 0, v10
	v_mov_b32_e32 v8, 0
	s_and_saveexec_b64 s[18:19], vcc
	s_cbranch_execz .LBB3_40
; %bb.31:                               ;   in Loop: Header=BB3_28 Depth=1
	v_bfe_u32 v8, v10, 23, 8
	v_sub_u32_e64 v10, s9, v8 clamp
	v_cmp_eq_u32_e32 vcc, 0, v8
	v_add_u32_e32 v20, 0xffffff88, v8
	v_cndmask_b32_e32 v8, v10, v16, vcc
	v_or_b32_e32 v11, 0x800000, v2
	v_add_u32_e32 v10, 20, v8
	v_cndmask_b32_e32 v2, v11, v2, vcc
	v_lshlrev_b64 v[10:11], v10, -1
	v_not_b32_e32 v11, v11
	v_not_b32_e32 v10, v10
	v_add_u32_e32 v18, 19, v8
	v_and_b32_e32 v11, 0, v11
	v_and_b32_e32 v10, v2, v10
	v_lshlrev_b64 v[18:19], v18, 1
	v_cmp_eq_u64_e64 s[0:1], v[10:11], v[18:19]
	v_lshrrev_b64 v[10:11], v8, v[2:3]
	v_cndmask_b32_e32 v2, v20, v17, vcc
	v_lshrrev_b32_e32 v18, 23, v10
	v_add3_u32 v8, v2, v8, v18
	v_and_b32_e32 v2, 0x100000, v10
	v_cmp_eq_u64_e32 vcc, 0, v[2:3]
	s_and_b64 vcc, vcc, s[0:1]
	v_subbrev_co_u32_e32 v2, vcc, 0, v10, vcc
	v_and_b32_e32 v2, 0xfffff, v2
	v_add_co_u32_e32 v10, vcc, v2, v10
	v_add_u32_e32 v18, -1, v8
	v_addc_co_u32_e32 v11, vcc, 0, v11, vcc
	v_cmp_ne_u32_e32 vcc, 0, v18
                                        ; implicit-def: $vgpr2
	s_and_saveexec_b64 s[0:1], vcc
	s_xor_b64 s[0:1], exec, s[0:1]
; %bb.32:                               ;   in Loop: Header=BB3_28 Depth=1
	v_and_b32_e32 v2, 0x1000000, v10
	v_cmp_eq_u64_e32 vcc, 0, v[2:3]
	v_cndmask_b32_e32 v2, v8, v18, vcc
	v_bfe_u32 v8, v10, 24, 1
	v_lshrrev_b64 v[10:11], v8, v[10:11]
; %bb.33:                               ;   in Loop: Header=BB3_28 Depth=1
	s_andn2_saveexec_b64 s[0:1], s[0:1]
; %bb.34:                               ;   in Loop: Header=BB3_28 Depth=1
	v_bfe_u32 v2, v10, 23, 1
; %bb.35:                               ;   in Loop: Header=BB3_28 Depth=1
	s_or_b64 exec, exec, s[0:1]
	v_lshrrev_b64 v[10:11], 20, v[10:11]
	v_cmp_gt_i32_e32 vcc, 16, v2
	v_cndmask_b32_e32 v11, 0, v11, vcc
	v_cndmask_b32_e32 v10, 7, v10, vcc
	v_cmp_ne_u32_e32 vcc, 0, v2
	v_cmp_ne_u64_e64 s[0:1], 0, v[10:11]
	s_or_b64 s[0:1], vcc, s[0:1]
                                        ; implicit-def: $vgpr8
	s_and_saveexec_b64 s[26:27], s[0:1]
	s_xor_b64 s[0:1], exec, s[26:27]
; %bb.36:                               ;   in Loop: Header=BB3_28 Depth=1
	v_min_i32_e32 v2, 15, v2
	v_lshl_or_b32 v2, v2, 3, v6
	v_and_or_b32 v8, v10, 7, v2
                                        ; implicit-def: $vgpr6
; %bb.37:                               ;   in Loop: Header=BB3_28 Depth=1
	s_andn2_saveexec_b64 s[0:1], s[0:1]
; %bb.38:                               ;   in Loop: Header=BB3_28 Depth=1
	v_mov_b32_e32 v8, v6
; %bb.39:                               ;   in Loop: Header=BB3_28 Depth=1
	s_or_b64 exec, exec, s[0:1]
.LBB3_40:                               ;   in Loop: Header=BB3_28 Depth=1
	s_or_b64 exec, exec, s[18:19]
.LBB3_41:                               ;   in Loop: Header=BB3_28 Depth=1
	s_andn2_saveexec_b64 s[0:1], s[16:17]
	s_or_b64 exec, exec, s[0:1]
                                        ; implicit-def: $vgpr10
.LBB3_42:                               ;   in Loop: Header=BB3_28 Depth=1
	s_andn2_saveexec_b64 s[0:1], s[14:15]
; %bb.43:                               ;   in Loop: Header=BB3_28 Depth=1
	v_or_b32_sdwa v6, v10, s25 dst_sel:DWORD dst_unused:UNUSED_PAD src0_sel:BYTE_3 src1_sel:DWORD
	v_cmp_eq_u64_e32 vcc, 0, v[2:3]
	v_cndmask_b32_e32 v8, v6, v8, vcc
; %bb.44:                               ;   in Loop: Header=BB3_28 Depth=1
	s_or_b64 exec, exec, s[0:1]
	v_mul_f32_e32 v2, v7, v1
	v_mul_f32_e32 v2, v2, v9
	;; [unrolled: 1-line block ×3, first 2 shown]
	v_min_f32_e32 v2, 0x43e00000, v2
	v_max_f32_e32 v6, 0xc3e00000, v2
	global_store_byte v12, v8, s[12:13]
	v_and_b32_sdwa v8, v6, s3 dst_sel:DWORD dst_unused:UNUSED_PAD src0_sel:BYTE_3 src1_sel:DWORD
	v_and_b32_e32 v10, 0x7f800000, v6
	v_mov_b32_e32 v11, v3
	v_and_b32_e32 v2, 0x7fffff, v6
	v_or_b32_e32 v7, 0x7e, v8
	v_cmp_ne_u64_e32 vcc, s[6:7], v[10:11]
	s_and_saveexec_b64 s[0:1], vcc
	s_xor_b64 s[14:15], exec, s[0:1]
	s_cbranch_execz .LBB3_58
; %bb.45:                               ;   in Loop: Header=BB3_28 Depth=1
	v_and_b32_e32 v10, 0x7fffffff, v6
	v_mov_b32_e32 v11, v3
	v_cmp_gt_u64_e32 vcc, s[10:11], v[10:11]
	s_and_saveexec_b64 s[0:1], vcc
	s_xor_b64 s[16:17], exec, s[0:1]
	s_cbranch_execz .LBB3_57
; %bb.46:                               ;   in Loop: Header=BB3_28 Depth=1
	v_cmp_ne_u32_e32 vcc, 0, v6
	v_mov_b32_e32 v7, 0
	s_and_saveexec_b64 s[18:19], vcc
	s_cbranch_execz .LBB3_56
; %bb.47:                               ;   in Loop: Header=BB3_28 Depth=1
	v_bfe_u32 v6, v6, 23, 8
	v_sub_u32_e64 v7, s9, v6 clamp
	v_cmp_eq_u32_e32 vcc, 0, v6
	v_cndmask_b32_e32 v19, v7, v16, vcc
	v_add_u32_e32 v18, 0xffffff88, v6
	v_add_u32_e32 v6, 20, v19
	v_or_b32_e32 v9, 0x800000, v2
	v_lshlrev_b64 v[6:7], v6, -1
	v_cndmask_b32_e32 v2, v9, v2, vcc
	v_not_b32_e32 v7, v7
	v_not_b32_e32 v6, v6
	v_add_u32_e32 v9, 19, v19
	v_and_b32_e32 v7, 0, v7
	v_and_b32_e32 v6, v2, v6
	v_lshlrev_b64 v[10:11], v9, 1
	v_cmp_eq_u64_e64 s[0:1], v[6:7], v[10:11]
	v_lshrrev_b64 v[6:7], v19, v[2:3]
	v_cndmask_b32_e32 v2, v18, v17, vcc
	v_lshrrev_b32_e32 v9, 23, v6
	v_add3_u32 v9, v2, v19, v9
	v_and_b32_e32 v2, 0x100000, v6
	v_cmp_eq_u64_e32 vcc, 0, v[2:3]
	s_and_b64 vcc, vcc, s[0:1]
	v_subbrev_co_u32_e32 v2, vcc, 0, v6, vcc
	v_and_b32_e32 v2, 0xfffff, v2
	v_add_co_u32_e32 v6, vcc, v2, v6
	v_add_u32_e32 v10, -1, v9
	v_addc_co_u32_e32 v7, vcc, 0, v7, vcc
	v_cmp_ne_u32_e32 vcc, 0, v10
                                        ; implicit-def: $vgpr2
	s_and_saveexec_b64 s[0:1], vcc
	s_xor_b64 s[0:1], exec, s[0:1]
; %bb.48:                               ;   in Loop: Header=BB3_28 Depth=1
	v_and_b32_e32 v2, 0x1000000, v6
	v_cmp_eq_u64_e32 vcc, 0, v[2:3]
	v_cndmask_b32_e32 v2, v9, v10, vcc
	v_bfe_u32 v9, v6, 24, 1
	v_lshrrev_b64 v[6:7], v9, v[6:7]
; %bb.49:                               ;   in Loop: Header=BB3_28 Depth=1
	s_andn2_saveexec_b64 s[0:1], s[0:1]
; %bb.50:                               ;   in Loop: Header=BB3_28 Depth=1
	v_bfe_u32 v2, v6, 23, 1
; %bb.51:                               ;   in Loop: Header=BB3_28 Depth=1
	s_or_b64 exec, exec, s[0:1]
	v_lshrrev_b64 v[6:7], 20, v[6:7]
	v_cmp_gt_i32_e32 vcc, 16, v2
	v_cndmask_b32_e32 v7, 0, v7, vcc
	v_cndmask_b32_e32 v6, 7, v6, vcc
	v_cmp_ne_u32_e32 vcc, 0, v2
	v_cmp_ne_u64_e64 s[0:1], 0, v[6:7]
	s_or_b64 s[0:1], vcc, s[0:1]
                                        ; implicit-def: $vgpr7
	s_and_saveexec_b64 s[26:27], s[0:1]
	s_xor_b64 s[0:1], exec, s[26:27]
; %bb.52:                               ;   in Loop: Header=BB3_28 Depth=1
	v_min_i32_e32 v2, 15, v2
	v_lshl_or_b32 v2, v2, 3, v8
	v_and_or_b32 v7, v6, 7, v2
                                        ; implicit-def: $vgpr8
; %bb.53:                               ;   in Loop: Header=BB3_28 Depth=1
	s_andn2_saveexec_b64 s[0:1], s[0:1]
; %bb.54:                               ;   in Loop: Header=BB3_28 Depth=1
	v_mov_b32_e32 v7, v8
; %bb.55:                               ;   in Loop: Header=BB3_28 Depth=1
	s_or_b64 exec, exec, s[0:1]
.LBB3_56:                               ;   in Loop: Header=BB3_28 Depth=1
	s_or_b64 exec, exec, s[18:19]
.LBB3_57:                               ;   in Loop: Header=BB3_28 Depth=1
	s_andn2_saveexec_b64 s[0:1], s[16:17]
	s_or_b64 exec, exec, s[0:1]
                                        ; implicit-def: $vgpr6
.LBB3_58:                               ;   in Loop: Header=BB3_28 Depth=1
	s_andn2_saveexec_b64 s[0:1], s[14:15]
	s_cbranch_execz .LBB3_27
; %bb.59:                               ;   in Loop: Header=BB3_28 Depth=1
	v_or_b32_sdwa v6, v6, s25 dst_sel:DWORD dst_unused:UNUSED_PAD src0_sel:BYTE_3 src1_sel:DWORD
	v_cmp_eq_u64_e32 vcc, 0, v[2:3]
	v_cndmask_b32_e32 v7, v6, v7, vcc
	s_branch .LBB3_27
.LBB3_60:
	s_endpgm
	.section	.rodata,"a",@progbits
	.p2align	6, 0x0
	.amdhsa_kernel _ZN4vllm32rms_norm_static_fp8_quant_kernelIfN3c1013Float8_e4m3fnELi2EEEvPT0_PKT_iS7_PKffii
		.amdhsa_group_segment_fixed_size 68
		.amdhsa_private_segment_fixed_size 0
		.amdhsa_kernarg_size 312
		.amdhsa_user_sgpr_count 6
		.amdhsa_user_sgpr_private_segment_buffer 1
		.amdhsa_user_sgpr_dispatch_ptr 0
		.amdhsa_user_sgpr_queue_ptr 0
		.amdhsa_user_sgpr_kernarg_segment_ptr 1
		.amdhsa_user_sgpr_dispatch_id 0
		.amdhsa_user_sgpr_flat_scratch_init 0
		.amdhsa_user_sgpr_kernarg_preload_length 0
		.amdhsa_user_sgpr_kernarg_preload_offset 0
		.amdhsa_user_sgpr_private_segment_size 0
		.amdhsa_uses_dynamic_stack 0
		.amdhsa_system_sgpr_private_segment_wavefront_offset 0
		.amdhsa_system_sgpr_workgroup_id_x 1
		.amdhsa_system_sgpr_workgroup_id_y 0
		.amdhsa_system_sgpr_workgroup_id_z 0
		.amdhsa_system_sgpr_workgroup_info 0
		.amdhsa_system_vgpr_workitem_id 0
		.amdhsa_next_free_vgpr 21
		.amdhsa_next_free_sgpr 28
		.amdhsa_accum_offset 24
		.amdhsa_reserve_vcc 1
		.amdhsa_reserve_flat_scratch 0
		.amdhsa_float_round_mode_32 0
		.amdhsa_float_round_mode_16_64 0
		.amdhsa_float_denorm_mode_32 3
		.amdhsa_float_denorm_mode_16_64 3
		.amdhsa_dx10_clamp 1
		.amdhsa_ieee_mode 1
		.amdhsa_fp16_overflow 0
		.amdhsa_tg_split 0
		.amdhsa_exception_fp_ieee_invalid_op 0
		.amdhsa_exception_fp_denorm_src 0
		.amdhsa_exception_fp_ieee_div_zero 0
		.amdhsa_exception_fp_ieee_overflow 0
		.amdhsa_exception_fp_ieee_underflow 0
		.amdhsa_exception_fp_ieee_inexact 0
		.amdhsa_exception_int_div_zero 0
	.end_amdhsa_kernel
	.section	.text._ZN4vllm32rms_norm_static_fp8_quant_kernelIfN3c1013Float8_e4m3fnELi2EEEvPT0_PKT_iS7_PKffii,"axG",@progbits,_ZN4vllm32rms_norm_static_fp8_quant_kernelIfN3c1013Float8_e4m3fnELi2EEEvPT0_PKT_iS7_PKffii,comdat
.Lfunc_end3:
	.size	_ZN4vllm32rms_norm_static_fp8_quant_kernelIfN3c1013Float8_e4m3fnELi2EEEvPT0_PKT_iS7_PKffii, .Lfunc_end3-_ZN4vllm32rms_norm_static_fp8_quant_kernelIfN3c1013Float8_e4m3fnELi2EEEvPT0_PKT_iS7_PKffii
                                        ; -- End function
	.section	.AMDGPU.csdata,"",@progbits
; Kernel info:
; codeLenInByte = 2688
; NumSgprs: 32
; NumVgprs: 21
; NumAgprs: 0
; TotalNumVgprs: 21
; ScratchSize: 0
; MemoryBound: 0
; FloatMode: 240
; IeeeMode: 1
; LDSByteSize: 68 bytes/workgroup (compile time only)
; SGPRBlocks: 3
; VGPRBlocks: 2
; NumSGPRsForWavesPerEU: 32
; NumVGPRsForWavesPerEU: 21
; AccumOffset: 24
; Occupancy: 8
; WaveLimiterHint : 0
; COMPUTE_PGM_RSRC2:SCRATCH_EN: 0
; COMPUTE_PGM_RSRC2:USER_SGPR: 6
; COMPUTE_PGM_RSRC2:TRAP_HANDLER: 0
; COMPUTE_PGM_RSRC2:TGID_X_EN: 1
; COMPUTE_PGM_RSRC2:TGID_Y_EN: 0
; COMPUTE_PGM_RSRC2:TGID_Z_EN: 0
; COMPUTE_PGM_RSRC2:TIDIG_COMP_CNT: 0
; COMPUTE_PGM_RSRC3_GFX90A:ACCUM_OFFSET: 5
; COMPUTE_PGM_RSRC3_GFX90A:TG_SPLIT: 0
	.section	.text._ZN4vllm32rms_norm_static_fp8_quant_kernelIfN3c1013Float8_e4m3fnELi1EEEvPT0_PKT_iS7_PKffii,"axG",@progbits,_ZN4vllm32rms_norm_static_fp8_quant_kernelIfN3c1013Float8_e4m3fnELi1EEEvPT0_PKT_iS7_PKffii,comdat
	.protected	_ZN4vllm32rms_norm_static_fp8_quant_kernelIfN3c1013Float8_e4m3fnELi1EEEvPT0_PKT_iS7_PKffii ; -- Begin function _ZN4vllm32rms_norm_static_fp8_quant_kernelIfN3c1013Float8_e4m3fnELi1EEEvPT0_PKT_iS7_PKffii
	.globl	_ZN4vllm32rms_norm_static_fp8_quant_kernelIfN3c1013Float8_e4m3fnELi1EEEvPT0_PKT_iS7_PKffii
	.p2align	8
	.type	_ZN4vllm32rms_norm_static_fp8_quant_kernelIfN3c1013Float8_e4m3fnELi1EEEvPT0_PKT_iS7_PKffii,@function
_ZN4vllm32rms_norm_static_fp8_quant_kernelIfN3c1013Float8_e4m3fnELi1EEEvPT0_PKT_iS7_PKffii: ; @_ZN4vllm32rms_norm_static_fp8_quant_kernelIfN3c1013Float8_e4m3fnELi1EEEvPT0_PKT_iS7_PKffii
; %bb.0:
	s_load_dword s0, s[4:5], 0x10
	s_load_dwordx2 s[2:3], s[4:5], 0x8
	s_load_dword s18, s[4:5], 0x30
	s_load_dword s10, s[4:5], 0x44
	s_mov_b32 s1, 0
	s_waitcnt lgkmcnt(0)
	s_mul_i32 s0, s6, s0
	s_lshl_b64 s[8:9], s[0:1], 2
	s_add_u32 s19, s2, s8
	s_addc_u32 s7, s3, s9
	s_and_b32 s20, s10, 0xffff
	s_and_b32 s0, s19, 3
	s_cmp_lg_u64 s[0:1], 0
	s_cbranch_scc0 .LBB4_6
; %bb.1:
	s_min_i32 s10, s18, 0
	s_sub_i32 s12, s18, s10
	v_cmp_gt_i32_e32 vcc, s12, v0
	v_mov_b32_e32 v4, 0
	s_and_saveexec_b64 s[0:1], vcc
	s_cbranch_execz .LBB4_5
; %bb.2:
	s_ashr_i32 s11, s10, 31
	s_lshl_b64 s[10:11], s[10:11], 2
	s_add_u32 s13, s2, s8
	s_addc_u32 s15, s3, s9
	s_add_u32 s10, s13, s10
	v_lshlrev_b32_e32 v1, 2, v0
	s_addc_u32 s11, s15, s11
	s_mov_b32 s14, 0
	v_mov_b32_e32 v3, s11
	v_add_co_u32_e32 v2, vcc, s10, v1
	v_addc_co_u32_e32 v3, vcc, 0, v3, vcc
	s_lshl_b32 s13, s20, 2
	s_mov_b64 s[10:11], 0
	v_mov_b32_e32 v4, 0
	v_mov_b32_e32 v1, s14
	;; [unrolled: 1-line block ×3, first 2 shown]
.LBB4_3:                                ; =>This Inner Loop Header: Depth=1
	global_load_dword v6, v[2:3], off
	v_add_co_u32_e32 v2, vcc, s13, v2
	v_add_u32_e32 v5, s20, v5
	v_addc_co_u32_e32 v3, vcc, v3, v1, vcc
	v_cmp_le_i32_e32 vcc, s12, v5
	s_or_b64 s[10:11], vcc, s[10:11]
	s_waitcnt vmcnt(0)
	v_fmac_f32_e32 v4, v6, v6
	s_andn2_b64 exec, exec, s[10:11]
	s_cbranch_execnz .LBB4_3
; %bb.4:
	s_or_b64 exec, exec, s[10:11]
.LBB4_5:
	s_or_b64 exec, exec, s[0:1]
	v_cmp_gt_i32_e64 s[0:1], s18, v0
	s_cbranch_execz .LBB4_7
	s_branch .LBB4_12
.LBB4_6:
                                        ; implicit-def: $vgpr4
	v_cmp_gt_i32_e64 s[0:1], s18, v0
.LBB4_7:
	v_mov_b32_e32 v4, 0
	s_and_saveexec_b64 s[10:11], s[0:1]
	s_cbranch_execz .LBB4_11
; %bb.8:
	s_add_u32 s0, s2, s8
	v_lshlrev_b32_e32 v1, 2, v0
	s_addc_u32 s1, s3, s9
	s_mov_b32 s12, 0
	v_mov_b32_e32 v3, s1
	v_add_co_u32_e32 v2, vcc, s0, v1
	v_addc_co_u32_e32 v3, vcc, 0, v3, vcc
	s_lshl_b32 s2, s20, 2
	s_mov_b64 s[0:1], 0
	v_mov_b32_e32 v4, 0
	v_mov_b32_e32 v1, s12
	;; [unrolled: 1-line block ×3, first 2 shown]
.LBB4_9:                                ; =>This Inner Loop Header: Depth=1
	global_load_dword v6, v[2:3], off
	v_add_co_u32_e32 v2, vcc, s2, v2
	v_add_u32_e32 v5, s20, v5
	v_addc_co_u32_e32 v3, vcc, v3, v1, vcc
	v_cmp_le_i32_e32 vcc, s18, v5
	s_or_b64 s[0:1], vcc, s[0:1]
	s_waitcnt vmcnt(0)
	v_fmac_f32_e32 v4, v6, v6
	s_andn2_b64 exec, exec, s[0:1]
	s_cbranch_execnz .LBB4_9
; %bb.10:
	s_or_b64 exec, exec, s[0:1]
.LBB4_11:
	s_or_b64 exec, exec, s[10:11]
.LBB4_12:
	v_mbcnt_lo_u32_b32 v1, -1, 0
	v_mbcnt_hi_u32_b32 v1, -1, v1
	v_and_b32_e32 v2, 63, v1
	v_cmp_ne_u32_e32 vcc, 63, v2
	v_addc_co_u32_e32 v3, vcc, 0, v1, vcc
	v_lshlrev_b32_e32 v3, 2, v3
	ds_bpermute_b32 v3, v3, v4
	v_and_b32_e32 v5, 0x3c0, v0
	v_sub_u32_e64 v5, s20, v5 clamp
	v_add_u32_e32 v6, 1, v1
	v_cmp_lt_u32_e32 vcc, v6, v5
	s_waitcnt lgkmcnt(0)
	v_add_f32_e32 v3, v4, v3
	v_cndmask_b32_e32 v3, v4, v3, vcc
	v_cmp_gt_u32_e32 vcc, 62, v2
	v_cndmask_b32_e64 v4, 0, 1, vcc
	v_lshlrev_b32_e32 v4, 1, v4
	v_add_lshl_u32 v4, v4, v1, 2
	ds_bpermute_b32 v4, v4, v3
	v_add_u32_e32 v6, 2, v1
	v_cmp_lt_u32_e32 vcc, v6, v5
	v_add_u32_e32 v6, 4, v1
	s_waitcnt lgkmcnt(0)
	v_add_f32_e32 v4, v3, v4
	v_cndmask_b32_e32 v3, v3, v4, vcc
	v_cmp_gt_u32_e32 vcc, 60, v2
	v_cndmask_b32_e64 v4, 0, 1, vcc
	v_lshlrev_b32_e32 v4, 2, v4
	v_add_lshl_u32 v4, v4, v1, 2
	ds_bpermute_b32 v4, v4, v3
	v_cmp_lt_u32_e32 vcc, v6, v5
	v_add_u32_e32 v6, 8, v1
	s_waitcnt lgkmcnt(0)
	v_add_f32_e32 v4, v3, v4
	v_cndmask_b32_e32 v3, v3, v4, vcc
	v_cmp_gt_u32_e32 vcc, 56, v2
	v_cndmask_b32_e64 v4, 0, 1, vcc
	v_lshlrev_b32_e32 v4, 3, v4
	v_add_lshl_u32 v4, v4, v1, 2
	ds_bpermute_b32 v4, v4, v3
	;; [unrolled: 10-line block ×3, first 2 shown]
	v_cmp_lt_u32_e32 vcc, v6, v5
	s_waitcnt lgkmcnt(0)
	v_add_f32_e32 v4, v3, v4
	v_cndmask_b32_e32 v3, v3, v4, vcc
	v_cmp_gt_u32_e32 vcc, 32, v2
	v_cndmask_b32_e64 v2, 0, 1, vcc
	v_lshlrev_b32_e32 v2, 5, v2
	v_add_lshl_u32 v2, v2, v1, 2
	ds_bpermute_b32 v2, v2, v3
	v_add_u32_e32 v4, 32, v1
	v_cmp_lt_u32_e32 vcc, v4, v5
	s_waitcnt lgkmcnt(0)
	v_add_f32_e32 v2, v3, v2
	v_cndmask_b32_e32 v2, v3, v2, vcc
	v_cmp_eq_u32_e32 vcc, 0, v1
	s_and_saveexec_b64 s[0:1], vcc
	s_cbranch_execz .LBB4_14
; %bb.13:
	v_lshrrev_b32_e32 v3, 4, v0
	v_and_b32_e32 v3, 60, v3
	ds_write_b32 v3, v2
.LBB4_14:
	s_or_b64 exec, exec, s[0:1]
	v_cmp_gt_u32_e32 vcc, 16, v0
	s_waitcnt lgkmcnt(0)
	s_barrier
	s_and_saveexec_b64 s[2:3], vcc
	s_cbranch_execz .LBB4_16
; %bb.15:
	v_lshlrev_b32_e32 v2, 2, v1
	ds_read_b32 v2, v2
	v_and_b32_e32 v3, 15, v1
	v_cmp_ne_u32_e32 vcc, 15, v3
	v_addc_co_u32_e32 v4, vcc, 0, v1, vcc
	v_lshlrev_b32_e32 v4, 2, v4
	s_waitcnt lgkmcnt(0)
	ds_bpermute_b32 v4, v4, v2
	s_add_i32 s0, s20, 63
	s_lshr_b32 s8, s0, 6
	v_add_u32_e32 v5, 1, v3
	v_cmp_gt_u32_e64 s[0:1], 14, v3
	v_cmp_gt_u32_e32 vcc, s8, v5
	v_cndmask_b32_e64 v5, 0, 1, s[0:1]
	s_waitcnt lgkmcnt(0)
	v_add_f32_e32 v4, v2, v4
	v_lshlrev_b32_e32 v5, 1, v5
	v_cndmask_b32_e32 v4, v2, v4, vcc
	v_add_lshl_u32 v5, v5, v1, 2
	ds_bpermute_b32 v5, v5, v4
	v_add_u32_e32 v6, 2, v3
	v_cmp_gt_u32_e64 s[0:1], s8, v6
	v_add_u32_e32 v6, 4, v3
	s_waitcnt lgkmcnt(0)
	v_add_f32_e32 v5, v4, v5
	v_cndmask_b32_e64 v4, v4, v5, s[0:1]
	v_cmp_gt_u32_e64 s[0:1], 12, v3
	v_cndmask_b32_e64 v5, 0, 1, s[0:1]
	v_lshlrev_b32_e32 v5, 2, v5
	v_add_lshl_u32 v5, v5, v1, 2
	ds_bpermute_b32 v5, v5, v4
	v_cmp_gt_u32_e64 s[0:1], s8, v6
	s_waitcnt lgkmcnt(0)
	v_add_f32_e32 v5, v4, v5
	v_cndmask_b32_e64 v4, v4, v5, s[0:1]
	v_cmp_gt_u32_e64 s[0:1], 8, v3
	v_cndmask_b32_e64 v5, 0, 1, s[0:1]
	v_lshlrev_b32_e32 v5, 3, v5
	v_add_lshl_u32 v1, v5, v1, 2
	ds_bpermute_b32 v1, v1, v4
	v_add_u32_e32 v3, 8, v3
	v_cmp_gt_u32_e64 s[0:1], s8, v3
	s_waitcnt lgkmcnt(0)
	v_add_f32_e32 v1, v4, v1
	v_cndmask_b32_e64 v1, v4, v1, s[0:1]
	v_cndmask_b32_e32 v2, v2, v1, vcc
.LBB4_16:
	s_or_b64 exec, exec, s[2:3]
	v_cmp_eq_u32_e32 vcc, 0, v0
	s_and_saveexec_b64 s[0:1], vcc
	s_cbranch_execz .LBB4_18
; %bb.17:
	v_cvt_f32_i32_e32 v1, s18
	s_load_dword s8, s[4:5], 0x28
	v_div_scale_f32 v3, s[2:3], v1, v1, v2
	v_rcp_f32_e32 v4, v3
	v_div_scale_f32 v5, vcc, v2, v1, v2
	s_mov_b32 s2, 0x800000
	v_fma_f32 v6, -v3, v4, 1.0
	v_fmac_f32_e32 v4, v6, v4
	v_mul_f32_e32 v6, v5, v4
	v_fma_f32 v7, -v3, v6, v5
	v_fmac_f32_e32 v6, v7, v4
	v_fma_f32 v3, -v3, v6, v5
	v_div_fmas_f32 v3, v3, v4, v6
	v_div_fixup_f32 v1, v3, v1, v2
	s_waitcnt lgkmcnt(0)
	v_add_f32_e32 v1, s8, v1
	v_mul_f32_e32 v2, 0x4b800000, v1
	v_cmp_gt_f32_e32 vcc, s2, v1
	v_cndmask_b32_e32 v1, v1, v2, vcc
	v_rsq_f32_e32 v1, v1
	v_mul_f32_e32 v2, 0x45800000, v1
	v_cndmask_b32_e32 v1, v1, v2, vcc
	v_mov_b32_e32 v2, 0
	ds_write_b32 v2, v1 offset:64
.LBB4_18:
	s_or_b64 exec, exec, s[0:1]
	v_cmp_gt_i32_e32 vcc, s18, v0
	s_waitcnt lgkmcnt(0)
	s_barrier
	s_and_saveexec_b64 s[0:1], vcc
	s_cbranch_execz .LBB4_37
; %bb.19:
	s_load_dwordx4 s[8:11], s[4:5], 0x18
	s_load_dwordx2 s[2:3], s[4:5], 0x0
	s_mul_i32 s21, s6, s18
	v_mov_b32_e32 v3, 0
	ds_read_b32 v7, v3 offset:64
	s_waitcnt lgkmcnt(0)
	s_load_dword s6, s[10:11], 0x0
	s_mov_b64 s[4:5], 0
	v_mov_b32_e32 v6, s7
	v_mov_b32_e32 v8, s9
	s_movk_i32 s9, 0x80
	s_waitcnt lgkmcnt(0)
	v_div_scale_f32 v1, s[0:1], s6, s6, 1.0
	v_rcp_f32_e32 v2, v1
	v_div_scale_f32 v4, vcc, 1.0, s6, 1.0
	s_mov_b64 s[10:11], 0x43e00001
	v_fma_f32 v5, -v1, v2, 1.0
	v_fmac_f32_e32 v2, v5, v2
	v_mul_f32_e32 v5, v4, v2
	v_fma_f32 v9, -v1, v5, v4
	v_fmac_f32_e32 v5, v9, v2
	v_fma_f32 v1, -v1, v5, v4
	v_div_fmas_f32 v1, v1, v2, v5
	v_div_fixup_f32 v9, v1, s6, 1.0
	s_mov_b64 s[6:7], 0x7f800000
	s_movk_i32 s22, 0x79
	s_movk_i32 s23, 0x7f
	v_mov_b32_e32 v10, 0x78
	v_mov_b32_e32 v11, 0xffffff89
	s_branch .LBB4_21
.LBB4_20:                               ;   in Loop: Header=BB4_21 Depth=1
	s_or_b64 exec, exec, s[0:1]
	v_add_u32_e32 v1, s21, v0
	v_add_u32_e32 v0, s20, v0
	v_cmp_le_i32_e32 vcc, s18, v0
	s_or_b64 s[4:5], vcc, s[4:5]
	global_store_byte v1, v5, s[2:3]
	s_andn2_b64 exec, exec, s[4:5]
	s_cbranch_execz .LBB4_37
.LBB4_21:                               ; =>This Inner Loop Header: Depth=1
	v_ashrrev_i32_e32 v1, 31, v0
	v_lshlrev_b64 v[4:5], 2, v[0:1]
	v_add_co_u32_e32 v12, vcc, s19, v4
	v_addc_co_u32_e32 v13, vcc, v6, v5, vcc
	v_add_co_u32_e32 v4, vcc, s8, v4
	global_load_dword v1, v[12:13], off
	v_addc_co_u32_e32 v5, vcc, v8, v5, vcc
	global_load_dword v2, v[4:5], off
	v_mov_b32_e32 v13, v3
	s_waitcnt vmcnt(1)
	v_mul_f32_e32 v1, v1, v7
	s_waitcnt vmcnt(0)
	v_mul_f32_e32 v1, v2, v1
	v_mul_f32_e32 v1, v9, v1
	v_min_f32_e32 v1, 0x43e00000, v1
	v_max_f32_e32 v4, 0xc3e00000, v1
	v_and_b32_sdwa v1, v4, s9 dst_sel:DWORD dst_unused:UNUSED_PAD src0_sel:BYTE_3 src1_sel:DWORD
	v_and_b32_e32 v12, 0x7f800000, v4
	v_and_b32_e32 v2, 0x7fffff, v4
	v_or_b32_e32 v5, 0x7e, v1
	v_cmp_ne_u64_e32 vcc, s[6:7], v[12:13]
	s_and_saveexec_b64 s[0:1], vcc
	s_xor_b64 s[12:13], exec, s[0:1]
	s_cbranch_execz .LBB4_35
; %bb.22:                               ;   in Loop: Header=BB4_21 Depth=1
	v_and_b32_e32 v12, 0x7fffffff, v4
	v_mov_b32_e32 v13, v3
	v_cmp_gt_u64_e32 vcc, s[10:11], v[12:13]
	s_and_saveexec_b64 s[0:1], vcc
	s_xor_b64 s[14:15], exec, s[0:1]
	s_cbranch_execz .LBB4_34
; %bb.23:                               ;   in Loop: Header=BB4_21 Depth=1
	v_cmp_ne_u32_e32 vcc, 0, v4
	v_mov_b32_e32 v5, 0
	s_and_saveexec_b64 s[16:17], vcc
	s_cbranch_execz .LBB4_33
; %bb.24:                               ;   in Loop: Header=BB4_21 Depth=1
	v_bfe_u32 v4, v4, 23, 8
	v_sub_u32_e64 v5, s22, v4 clamp
	v_cmp_eq_u32_e32 vcc, 0, v4
	v_cndmask_b32_e32 v15, v5, v10, vcc
	v_add_u32_e32 v14, 0xffffff88, v4
	v_add_u32_e32 v4, 20, v15
	v_or_b32_e32 v12, 0x800000, v2
	v_lshlrev_b64 v[4:5], v4, -1
	v_cndmask_b32_e32 v2, v12, v2, vcc
	v_not_b32_e32 v5, v5
	v_not_b32_e32 v4, v4
	v_add_u32_e32 v12, 19, v15
	v_and_b32_e32 v5, 0, v5
	v_and_b32_e32 v4, v2, v4
	v_lshlrev_b64 v[12:13], v12, 1
	v_cmp_eq_u64_e64 s[0:1], v[4:5], v[12:13]
	s_waitcnt vmcnt(0) expcnt(0) lgkmcnt(0)
	v_swap_b32 v0, v15
	v_lshrrev_b64 v[4:5], v0, v[2:3]
	v_swap_b32 v15, v0
	v_cndmask_b32_e32 v2, v14, v11, vcc
	v_lshrrev_b32_e32 v12, 23, v4
	v_add3_u32 v12, v2, v15, v12
	v_and_b32_e32 v2, 0x100000, v4
	v_cmp_eq_u64_e32 vcc, 0, v[2:3]
	s_and_b64 vcc, vcc, s[0:1]
	v_subbrev_co_u32_e32 v2, vcc, 0, v4, vcc
	v_and_b32_e32 v2, 0xfffff, v2
	v_add_co_u32_e32 v4, vcc, v2, v4
	v_add_u32_e32 v13, -1, v12
	v_addc_co_u32_e32 v5, vcc, 0, v5, vcc
	v_cmp_ne_u32_e32 vcc, 0, v13
                                        ; implicit-def: $vgpr2
	s_and_saveexec_b64 s[0:1], vcc
	s_xor_b64 s[0:1], exec, s[0:1]
; %bb.25:                               ;   in Loop: Header=BB4_21 Depth=1
	v_and_b32_e32 v2, 0x1000000, v4
	v_cmp_eq_u64_e32 vcc, 0, v[2:3]
	v_cndmask_b32_e32 v2, v12, v13, vcc
	v_bfe_u32 v12, v4, 24, 1
	v_lshrrev_b64 v[4:5], v12, v[4:5]
; %bb.26:                               ;   in Loop: Header=BB4_21 Depth=1
	s_andn2_saveexec_b64 s[0:1], s[0:1]
; %bb.27:                               ;   in Loop: Header=BB4_21 Depth=1
	v_bfe_u32 v2, v4, 23, 1
; %bb.28:                               ;   in Loop: Header=BB4_21 Depth=1
	s_or_b64 exec, exec, s[0:1]
	v_lshrrev_b64 v[4:5], 20, v[4:5]
	v_cmp_gt_i32_e32 vcc, 16, v2
	v_cndmask_b32_e32 v5, 0, v5, vcc
	v_cndmask_b32_e32 v4, 7, v4, vcc
	v_cmp_ne_u32_e32 vcc, 0, v2
	v_cmp_ne_u64_e64 s[0:1], 0, v[4:5]
	s_or_b64 s[0:1], vcc, s[0:1]
                                        ; implicit-def: $vgpr5
	s_and_saveexec_b64 s[24:25], s[0:1]
	s_xor_b64 s[0:1], exec, s[24:25]
; %bb.29:                               ;   in Loop: Header=BB4_21 Depth=1
	v_min_i32_e32 v2, 15, v2
	v_lshl_or_b32 v1, v2, 3, v1
	v_and_or_b32 v5, v4, 7, v1
                                        ; implicit-def: $vgpr1
; %bb.30:                               ;   in Loop: Header=BB4_21 Depth=1
	s_andn2_saveexec_b64 s[0:1], s[0:1]
; %bb.31:                               ;   in Loop: Header=BB4_21 Depth=1
	v_mov_b32_e32 v5, v1
; %bb.32:                               ;   in Loop: Header=BB4_21 Depth=1
	s_or_b64 exec, exec, s[0:1]
.LBB4_33:                               ;   in Loop: Header=BB4_21 Depth=1
	s_or_b64 exec, exec, s[16:17]
.LBB4_34:                               ;   in Loop: Header=BB4_21 Depth=1
	s_andn2_saveexec_b64 s[0:1], s[14:15]
	s_or_b64 exec, exec, s[0:1]
                                        ; implicit-def: $vgpr4
.LBB4_35:                               ;   in Loop: Header=BB4_21 Depth=1
	s_andn2_saveexec_b64 s[0:1], s[12:13]
	s_cbranch_execz .LBB4_20
; %bb.36:                               ;   in Loop: Header=BB4_21 Depth=1
	v_or_b32_sdwa v1, v4, s23 dst_sel:DWORD dst_unused:UNUSED_PAD src0_sel:BYTE_3 src1_sel:DWORD
	v_cmp_eq_u64_e32 vcc, 0, v[2:3]
	v_cndmask_b32_e32 v5, v1, v5, vcc
	s_branch .LBB4_20
.LBB4_37:
	s_endpgm
	.section	.rodata,"a",@progbits
	.p2align	6, 0x0
	.amdhsa_kernel _ZN4vllm32rms_norm_static_fp8_quant_kernelIfN3c1013Float8_e4m3fnELi1EEEvPT0_PKT_iS7_PKffii
		.amdhsa_group_segment_fixed_size 68
		.amdhsa_private_segment_fixed_size 0
		.amdhsa_kernarg_size 312
		.amdhsa_user_sgpr_count 6
		.amdhsa_user_sgpr_private_segment_buffer 1
		.amdhsa_user_sgpr_dispatch_ptr 0
		.amdhsa_user_sgpr_queue_ptr 0
		.amdhsa_user_sgpr_kernarg_segment_ptr 1
		.amdhsa_user_sgpr_dispatch_id 0
		.amdhsa_user_sgpr_flat_scratch_init 0
		.amdhsa_user_sgpr_kernarg_preload_length 0
		.amdhsa_user_sgpr_kernarg_preload_offset 0
		.amdhsa_user_sgpr_private_segment_size 0
		.amdhsa_uses_dynamic_stack 0
		.amdhsa_system_sgpr_private_segment_wavefront_offset 0
		.amdhsa_system_sgpr_workgroup_id_x 1
		.amdhsa_system_sgpr_workgroup_id_y 0
		.amdhsa_system_sgpr_workgroup_id_z 0
		.amdhsa_system_sgpr_workgroup_info 0
		.amdhsa_system_vgpr_workitem_id 0
		.amdhsa_next_free_vgpr 16
		.amdhsa_next_free_sgpr 26
		.amdhsa_accum_offset 16
		.amdhsa_reserve_vcc 1
		.amdhsa_reserve_flat_scratch 0
		.amdhsa_float_round_mode_32 0
		.amdhsa_float_round_mode_16_64 0
		.amdhsa_float_denorm_mode_32 3
		.amdhsa_float_denorm_mode_16_64 3
		.amdhsa_dx10_clamp 1
		.amdhsa_ieee_mode 1
		.amdhsa_fp16_overflow 0
		.amdhsa_tg_split 0
		.amdhsa_exception_fp_ieee_invalid_op 0
		.amdhsa_exception_fp_denorm_src 0
		.amdhsa_exception_fp_ieee_div_zero 0
		.amdhsa_exception_fp_ieee_overflow 0
		.amdhsa_exception_fp_ieee_underflow 0
		.amdhsa_exception_fp_ieee_inexact 0
		.amdhsa_exception_int_div_zero 0
	.end_amdhsa_kernel
	.section	.text._ZN4vllm32rms_norm_static_fp8_quant_kernelIfN3c1013Float8_e4m3fnELi1EEEvPT0_PKT_iS7_PKffii,"axG",@progbits,_ZN4vllm32rms_norm_static_fp8_quant_kernelIfN3c1013Float8_e4m3fnELi1EEEvPT0_PKT_iS7_PKffii,comdat
.Lfunc_end4:
	.size	_ZN4vllm32rms_norm_static_fp8_quant_kernelIfN3c1013Float8_e4m3fnELi1EEEvPT0_PKT_iS7_PKffii, .Lfunc_end4-_ZN4vllm32rms_norm_static_fp8_quant_kernelIfN3c1013Float8_e4m3fnELi1EEEvPT0_PKT_iS7_PKffii
                                        ; -- End function
	.section	.AMDGPU.csdata,"",@progbits
; Kernel info:
; codeLenInByte = 1928
; NumSgprs: 30
; NumVgprs: 16
; NumAgprs: 0
; TotalNumVgprs: 16
; ScratchSize: 0
; MemoryBound: 0
; FloatMode: 240
; IeeeMode: 1
; LDSByteSize: 68 bytes/workgroup (compile time only)
; SGPRBlocks: 3
; VGPRBlocks: 1
; NumSGPRsForWavesPerEU: 30
; NumVGPRsForWavesPerEU: 16
; AccumOffset: 16
; Occupancy: 8
; WaveLimiterHint : 0
; COMPUTE_PGM_RSRC2:SCRATCH_EN: 0
; COMPUTE_PGM_RSRC2:USER_SGPR: 6
; COMPUTE_PGM_RSRC2:TRAP_HANDLER: 0
; COMPUTE_PGM_RSRC2:TGID_X_EN: 1
; COMPUTE_PGM_RSRC2:TGID_Y_EN: 0
; COMPUTE_PGM_RSRC2:TGID_Z_EN: 0
; COMPUTE_PGM_RSRC2:TIDIG_COMP_CNT: 0
; COMPUTE_PGM_RSRC3_GFX90A:ACCUM_OFFSET: 3
; COMPUTE_PGM_RSRC3_GFX90A:TG_SPLIT: 0
	.section	.text._ZN4vllm32rms_norm_static_fp8_quant_kernelIfN3c1015Float8_e4m3fnuzELi16EEEvPT0_PKT_iS7_PKffii,"axG",@progbits,_ZN4vllm32rms_norm_static_fp8_quant_kernelIfN3c1015Float8_e4m3fnuzELi16EEEvPT0_PKT_iS7_PKffii,comdat
	.protected	_ZN4vllm32rms_norm_static_fp8_quant_kernelIfN3c1015Float8_e4m3fnuzELi16EEEvPT0_PKT_iS7_PKffii ; -- Begin function _ZN4vllm32rms_norm_static_fp8_quant_kernelIfN3c1015Float8_e4m3fnuzELi16EEEvPT0_PKT_iS7_PKffii
	.globl	_ZN4vllm32rms_norm_static_fp8_quant_kernelIfN3c1015Float8_e4m3fnuzELi16EEEvPT0_PKT_iS7_PKffii
	.p2align	8
	.type	_ZN4vllm32rms_norm_static_fp8_quant_kernelIfN3c1015Float8_e4m3fnuzELi16EEEvPT0_PKT_iS7_PKffii,@function
_ZN4vllm32rms_norm_static_fp8_quant_kernelIfN3c1015Float8_e4m3fnuzELi16EEEvPT0_PKT_iS7_PKffii: ; @_ZN4vllm32rms_norm_static_fp8_quant_kernelIfN3c1015Float8_e4m3fnuzELi16EEEvPT0_PKT_iS7_PKffii
; %bb.0:
	s_load_dword s2, s[4:5], 0x10
	s_load_dwordx2 s[0:1], s[4:5], 0x8
	s_load_dword s7, s[4:5], 0x30
	s_load_dword s10, s[4:5], 0x44
	s_mov_b32 s9, 0
	s_waitcnt lgkmcnt(0)
	s_mul_i32 s8, s6, s2
	s_lshl_b64 s[2:3], s[8:9], 2
	s_add_u32 s18, s0, s2
	s_addc_u32 s19, s1, s3
	s_and_b32 s20, s10, 0xffff
	s_and_b32 s8, s18, 63
	s_cmp_lg_u64 s[8:9], 0
	s_cselect_b64 s[8:9], -1, 0
	s_and_b32 s10, s7, 15
	s_cmp_lg_u32 s10, 0
	s_cselect_b64 s[10:11], -1, 0
	s_or_b64 s[8:9], s[8:9], s[10:11]
	s_and_b64 vcc, exec, s[8:9]
	s_cbranch_vccz .LBB5_14
; %bb.1:
	s_sub_i32 s8, 0, s18
	s_bfe_u32 s8, s8, 0x40002
	s_min_i32 s8, s8, s7
	v_cmp_gt_i32_e32 vcc, s8, v0
	v_mov_b32_e32 v1, 0
	s_and_saveexec_b64 s[10:11], vcc
	s_cbranch_execz .LBB5_5
; %bb.2:
	s_add_u32 s9, s0, s2
	v_lshlrev_b32_e32 v1, 2, v0
	s_addc_u32 s12, s1, s3
	s_mov_b32 s14, 0
	v_mov_b32_e32 v3, s12
	v_add_co_u32_e32 v2, vcc, s9, v1
	v_addc_co_u32_e32 v3, vcc, 0, v3, vcc
	s_lshl_b32 s9, s20, 2
	s_mov_b64 s[12:13], 0
	v_mov_b32_e32 v1, 0
	v_mov_b32_e32 v4, s14
	;; [unrolled: 1-line block ×3, first 2 shown]
.LBB5_3:                                ; =>This Inner Loop Header: Depth=1
	global_load_dword v6, v[2:3], off
	v_add_co_u32_e32 v2, vcc, s9, v2
	v_add_u32_e32 v5, s20, v5
	v_addc_co_u32_e32 v3, vcc, v3, v4, vcc
	v_cmp_le_i32_e32 vcc, s8, v5
	s_or_b64 s[12:13], vcc, s[12:13]
	s_waitcnt vmcnt(0)
	v_fmac_f32_e32 v1, v6, v6
	s_andn2_b64 exec, exec, s[12:13]
	s_cbranch_execnz .LBB5_3
; %bb.4:
	s_or_b64 exec, exec, s[12:13]
.LBB5_5:
	s_or_b64 exec, exec, s[10:11]
	s_sub_i32 s14, s7, s8
	s_ashr_i32 s10, s14, 31
	s_lshr_b32 s10, s10, 28
	s_add_i32 s10, s14, s10
	s_ashr_i32 s15, s10, 4
	s_ashr_i32 s9, s8, 31
	v_cmp_gt_i32_e32 vcc, s15, v0
	s_and_saveexec_b64 s[10:11], vcc
	s_cbranch_execz .LBB5_9
; %bb.6:
	s_lshl_b64 s[12:13], s[8:9], 2
	s_add_u32 s16, s0, s2
	s_addc_u32 s21, s1, s3
	s_add_u32 s12, s16, s12
	v_lshlrev_b32_e32 v2, 6, v0
	s_addc_u32 s13, s21, s13
	s_mov_b32 s17, 0
	v_mov_b32_e32 v3, s13
	v_add_co_u32_e32 v2, vcc, s12, v2
	v_addc_co_u32_e32 v3, vcc, 0, v3, vcc
	s_lshl_b32 s16, s20, 6
	s_mov_b64 s[12:13], 0
	v_mov_b32_e32 v4, s17
	v_mov_b32_e32 v5, v0
.LBB5_7:                                ; =>This Inner Loop Header: Depth=1
	global_load_dwordx4 v[6:9], v[2:3], off
	global_load_dwordx4 v[10:13], v[2:3], off offset:16
	global_load_dwordx4 v[14:17], v[2:3], off offset:32
	;; [unrolled: 1-line block ×3, first 2 shown]
	v_add_co_u32_e32 v2, vcc, s16, v2
	v_add_u32_e32 v5, s20, v5
	v_addc_co_u32_e32 v3, vcc, v3, v4, vcc
	v_cmp_le_i32_e32 vcc, s15, v5
	s_or_b64 s[12:13], vcc, s[12:13]
	s_waitcnt vmcnt(3)
	v_fmac_f32_e32 v1, v6, v6
	v_fmac_f32_e32 v1, v7, v7
	v_fmac_f32_e32 v1, v8, v8
	v_fmac_f32_e32 v1, v9, v9
	s_waitcnt vmcnt(2)
	v_fmac_f32_e32 v1, v10, v10
	v_fmac_f32_e32 v1, v11, v11
	v_fmac_f32_e32 v1, v12, v12
	v_fmac_f32_e32 v1, v13, v13
	;; [unrolled: 5-line block ×4, first 2 shown]
	s_andn2_b64 exec, exec, s[12:13]
	s_cbranch_execnz .LBB5_7
; %bb.8:
	s_or_b64 exec, exec, s[12:13]
.LBB5_9:
	s_or_b64 exec, exec, s[10:11]
	v_lshl_add_u32 v2, s15, 4, v0
	v_cmp_gt_i32_e32 vcc, s14, v2
	s_and_saveexec_b64 s[10:11], vcc
	s_cbranch_execz .LBB5_13
; %bb.10:
	s_lshl_b64 s[8:9], s[8:9], 2
	s_add_u32 s12, s0, s2
	s_addc_u32 s13, s1, s3
	v_ashrrev_i32_e32 v3, 31, v2
	s_add_u32 s8, s12, s8
	v_lshlrev_b64 v[4:5], 2, v[2:3]
	s_addc_u32 s9, s13, s9
	v_mov_b32_e32 v3, s9
	v_add_co_u32_e32 v4, vcc, s8, v4
	s_mov_b32 s13, 0
	v_addc_co_u32_e32 v5, vcc, v3, v5, vcc
	s_lshl_b32 s12, s20, 2
	s_mov_b64 s[8:9], 0
	v_mov_b32_e32 v3, s13
.LBB5_11:                               ; =>This Inner Loop Header: Depth=1
	global_load_dword v6, v[4:5], off
	v_add_co_u32_e32 v4, vcc, s12, v4
	v_add_u32_e32 v2, s20, v2
	v_addc_co_u32_e32 v5, vcc, v5, v3, vcc
	v_cmp_le_i32_e32 vcc, s14, v2
	s_or_b64 s[8:9], vcc, s[8:9]
	s_waitcnt vmcnt(0)
	v_fmac_f32_e32 v1, v6, v6
	s_andn2_b64 exec, exec, s[8:9]
	s_cbranch_execnz .LBB5_11
; %bb.12:
	s_or_b64 exec, exec, s[8:9]
.LBB5_13:
	s_or_b64 exec, exec, s[10:11]
	s_branch .LBB5_20
.LBB5_14:
                                        ; implicit-def: $vgpr1
	s_cbranch_execz .LBB5_20
; %bb.15:
	s_ashr_i32 s10, s7, 4
	v_cmp_gt_i32_e32 vcc, s10, v0
	v_mov_b32_e32 v1, 0
	s_and_saveexec_b64 s[8:9], vcc
	s_cbranch_execz .LBB5_19
; %bb.16:
	s_add_u32 s0, s0, s2
	v_lshlrev_b32_e32 v1, 6, v0
	s_addc_u32 s1, s1, s3
	s_mov_b32 s11, 0
	v_mov_b32_e32 v3, s1
	v_add_co_u32_e32 v2, vcc, s0, v1
	v_addc_co_u32_e32 v3, vcc, 0, v3, vcc
	s_lshl_b32 s2, s20, 6
	s_mov_b64 s[0:1], 0
	v_mov_b32_e32 v1, 0
	v_mov_b32_e32 v4, s11
	;; [unrolled: 1-line block ×3, first 2 shown]
.LBB5_17:                               ; =>This Inner Loop Header: Depth=1
	global_load_dwordx4 v[6:9], v[2:3], off
	global_load_dwordx4 v[10:13], v[2:3], off offset:16
	global_load_dwordx4 v[14:17], v[2:3], off offset:32
	;; [unrolled: 1-line block ×3, first 2 shown]
	v_add_co_u32_e32 v2, vcc, s2, v2
	v_add_u32_e32 v5, s20, v5
	v_addc_co_u32_e32 v3, vcc, v3, v4, vcc
	v_cmp_le_i32_e32 vcc, s10, v5
	s_or_b64 s[0:1], vcc, s[0:1]
	s_waitcnt vmcnt(3)
	v_fmac_f32_e32 v1, v6, v6
	v_fmac_f32_e32 v1, v7, v7
	v_fmac_f32_e32 v1, v8, v8
	v_fmac_f32_e32 v1, v9, v9
	s_waitcnt vmcnt(2)
	v_fmac_f32_e32 v1, v10, v10
	v_fmac_f32_e32 v1, v11, v11
	v_fmac_f32_e32 v1, v12, v12
	v_fmac_f32_e32 v1, v13, v13
	s_waitcnt vmcnt(1)
	v_fmac_f32_e32 v1, v14, v14
	v_fmac_f32_e32 v1, v15, v15
	v_fmac_f32_e32 v1, v16, v16
	v_fmac_f32_e32 v1, v17, v17
	s_waitcnt vmcnt(0)
	v_fmac_f32_e32 v1, v18, v18
	v_fmac_f32_e32 v1, v19, v19
	v_fmac_f32_e32 v1, v20, v20
	v_fmac_f32_e32 v1, v21, v21
	s_andn2_b64 exec, exec, s[0:1]
	s_cbranch_execnz .LBB5_17
; %bb.18:
	s_or_b64 exec, exec, s[0:1]
.LBB5_19:
	s_or_b64 exec, exec, s[8:9]
.LBB5_20:
	v_mbcnt_lo_u32_b32 v2, -1, 0
	v_mbcnt_hi_u32_b32 v2, -1, v2
	v_and_b32_e32 v3, 63, v2
	v_cmp_ne_u32_e32 vcc, 63, v3
	v_addc_co_u32_e32 v4, vcc, 0, v2, vcc
	v_lshlrev_b32_e32 v4, 2, v4
	ds_bpermute_b32 v4, v4, v1
	v_and_b32_e32 v5, 0x3c0, v0
	v_sub_u32_e64 v5, s20, v5 clamp
	v_add_u32_e32 v6, 1, v2
	v_cmp_lt_u32_e32 vcc, v6, v5
	s_waitcnt lgkmcnt(0)
	v_add_f32_e32 v4, v1, v4
	v_cndmask_b32_e32 v1, v1, v4, vcc
	v_cmp_gt_u32_e32 vcc, 62, v3
	v_cndmask_b32_e64 v4, 0, 1, vcc
	v_lshlrev_b32_e32 v4, 1, v4
	v_add_lshl_u32 v4, v4, v2, 2
	ds_bpermute_b32 v4, v4, v1
	v_add_u32_e32 v6, 2, v2
	v_cmp_lt_u32_e32 vcc, v6, v5
	v_add_u32_e32 v6, 4, v2
	s_waitcnt lgkmcnt(0)
	v_add_f32_e32 v4, v1, v4
	v_cndmask_b32_e32 v1, v1, v4, vcc
	v_cmp_gt_u32_e32 vcc, 60, v3
	v_cndmask_b32_e64 v4, 0, 1, vcc
	v_lshlrev_b32_e32 v4, 2, v4
	v_add_lshl_u32 v4, v4, v2, 2
	ds_bpermute_b32 v4, v4, v1
	v_cmp_lt_u32_e32 vcc, v6, v5
	v_add_u32_e32 v6, 8, v2
	s_waitcnt lgkmcnt(0)
	v_add_f32_e32 v4, v1, v4
	v_cndmask_b32_e32 v1, v1, v4, vcc
	v_cmp_gt_u32_e32 vcc, 56, v3
	v_cndmask_b32_e64 v4, 0, 1, vcc
	v_lshlrev_b32_e32 v4, 3, v4
	v_add_lshl_u32 v4, v4, v2, 2
	ds_bpermute_b32 v4, v4, v1
	;; [unrolled: 10-line block ×3, first 2 shown]
	v_cmp_lt_u32_e32 vcc, v6, v5
	s_waitcnt lgkmcnt(0)
	v_add_f32_e32 v4, v1, v4
	v_cndmask_b32_e32 v1, v1, v4, vcc
	v_cmp_gt_u32_e32 vcc, 32, v3
	v_cndmask_b32_e64 v3, 0, 1, vcc
	v_lshlrev_b32_e32 v3, 5, v3
	v_add_lshl_u32 v3, v3, v2, 2
	ds_bpermute_b32 v3, v3, v1
	v_add_u32_e32 v4, 32, v2
	v_cmp_lt_u32_e32 vcc, v4, v5
	s_waitcnt lgkmcnt(0)
	v_add_f32_e32 v3, v1, v3
	v_cndmask_b32_e32 v1, v1, v3, vcc
	v_cmp_eq_u32_e32 vcc, 0, v2
	s_and_saveexec_b64 s[0:1], vcc
	s_cbranch_execz .LBB5_22
; %bb.21:
	v_lshrrev_b32_e32 v3, 4, v0
	v_and_b32_e32 v3, 60, v3
	ds_write_b32 v3, v1
.LBB5_22:
	s_or_b64 exec, exec, s[0:1]
	v_cmp_gt_u32_e32 vcc, 16, v0
	s_waitcnt lgkmcnt(0)
	s_barrier
	s_and_saveexec_b64 s[2:3], vcc
	s_cbranch_execz .LBB5_24
; %bb.23:
	v_lshlrev_b32_e32 v1, 2, v2
	ds_read_b32 v1, v1
	v_and_b32_e32 v3, 15, v2
	v_cmp_ne_u32_e32 vcc, 15, v3
	v_addc_co_u32_e32 v4, vcc, 0, v2, vcc
	v_lshlrev_b32_e32 v4, 2, v4
	s_waitcnt lgkmcnt(0)
	ds_bpermute_b32 v4, v4, v1
	s_add_i32 s0, s20, 63
	s_lshr_b32 s8, s0, 6
	v_add_u32_e32 v5, 1, v3
	v_cmp_gt_u32_e64 s[0:1], 14, v3
	v_cmp_gt_u32_e32 vcc, s8, v5
	v_cndmask_b32_e64 v5, 0, 1, s[0:1]
	s_waitcnt lgkmcnt(0)
	v_add_f32_e32 v4, v1, v4
	v_lshlrev_b32_e32 v5, 1, v5
	v_cndmask_b32_e32 v4, v1, v4, vcc
	v_add_lshl_u32 v5, v5, v2, 2
	ds_bpermute_b32 v5, v5, v4
	v_add_u32_e32 v6, 2, v3
	v_cmp_gt_u32_e64 s[0:1], s8, v6
	v_add_u32_e32 v6, 4, v3
	s_waitcnt lgkmcnt(0)
	v_add_f32_e32 v5, v4, v5
	v_cndmask_b32_e64 v4, v4, v5, s[0:1]
	v_cmp_gt_u32_e64 s[0:1], 12, v3
	v_cndmask_b32_e64 v5, 0, 1, s[0:1]
	v_lshlrev_b32_e32 v5, 2, v5
	v_add_lshl_u32 v5, v5, v2, 2
	ds_bpermute_b32 v5, v5, v4
	v_cmp_gt_u32_e64 s[0:1], s8, v6
	s_waitcnt lgkmcnt(0)
	v_add_f32_e32 v5, v4, v5
	v_cndmask_b32_e64 v4, v4, v5, s[0:1]
	v_cmp_gt_u32_e64 s[0:1], 8, v3
	v_cndmask_b32_e64 v5, 0, 1, s[0:1]
	v_lshlrev_b32_e32 v5, 3, v5
	v_add_lshl_u32 v2, v5, v2, 2
	ds_bpermute_b32 v2, v2, v4
	v_add_u32_e32 v3, 8, v3
	v_cmp_gt_u32_e64 s[0:1], s8, v3
	s_waitcnt lgkmcnt(0)
	v_add_f32_e32 v2, v4, v2
	v_cndmask_b32_e64 v2, v4, v2, s[0:1]
	v_cndmask_b32_e32 v1, v1, v2, vcc
.LBB5_24:
	s_or_b64 exec, exec, s[2:3]
	v_cmp_eq_u32_e32 vcc, 0, v0
	s_and_saveexec_b64 s[0:1], vcc
	s_cbranch_execz .LBB5_26
; %bb.25:
	v_cvt_f32_i32_e32 v2, s7
	s_load_dword s8, s[4:5], 0x28
	v_div_scale_f32 v3, s[2:3], v2, v2, v1
	v_rcp_f32_e32 v4, v3
	v_div_scale_f32 v5, vcc, v1, v2, v1
	s_mov_b32 s2, 0x800000
	v_fma_f32 v6, -v3, v4, 1.0
	v_fmac_f32_e32 v4, v6, v4
	v_mul_f32_e32 v6, v5, v4
	v_fma_f32 v7, -v3, v6, v5
	v_fmac_f32_e32 v6, v7, v4
	v_fma_f32 v3, -v3, v6, v5
	v_div_fmas_f32 v3, v3, v4, v6
	v_div_fixup_f32 v1, v3, v2, v1
	s_waitcnt lgkmcnt(0)
	v_add_f32_e32 v1, s8, v1
	v_mul_f32_e32 v2, 0x4b800000, v1
	v_cmp_gt_f32_e32 vcc, s2, v1
	v_cndmask_b32_e32 v1, v1, v2, vcc
	v_rsq_f32_e32 v1, v1
	v_mul_f32_e32 v2, 0x45800000, v1
	v_cndmask_b32_e32 v1, v1, v2, vcc
	v_mov_b32_e32 v2, 0
	ds_write_b32 v2, v1 offset:64
.LBB5_26:
	s_or_b64 exec, exec, s[0:1]
	s_ashr_i32 s0, s7, 31
	s_lshr_b32 s0, s0, 28
	s_add_i32 s0, s7, s0
	s_ashr_i32 s21, s0, 4
	v_cmp_gt_i32_e32 vcc, s21, v0
	s_waitcnt lgkmcnt(0)
	s_barrier
	s_and_saveexec_b64 s[0:1], vcc
	s_cbranch_execz .LBB5_189
; %bb.27:
	s_load_dwordx4 s[8:11], s[4:5], 0x18
	s_load_dwordx2 s[2:3], s[4:5], 0x0
	v_mov_b32_e32 v35, 0
	ds_read_b32 v1, v35 offset:64
	s_mul_i32 s6, s6, s7
	s_waitcnt lgkmcnt(0)
	s_load_dword s4, s[10:11], 0x0
	s_lshl_b32 s22, s20, 4
	v_lshlrev_b32_e32 v36, 6, v0
	v_lshl_add_u32 v37, v0, 4, s6
	s_lshl_b32 s23, s20, 6
	s_waitcnt lgkmcnt(0)
	v_div_scale_f32 v2, s[0:1], s4, s4, 1.0
	v_rcp_f32_e32 v3, v2
	v_div_scale_f32 v4, vcc, 1.0, s4, 1.0
	s_movk_i32 s24, 0x7f
	v_fma_f32 v5, -v2, v3, 1.0
	v_fmac_f32_e32 v3, v5, v3
	v_mul_f32_e32 v5, v4, v3
	v_fma_f32 v6, -v2, v5, v4
	v_fmac_f32_e32 v5, v6, v3
	v_fma_f32 v2, -v2, v5, v4
	v_div_fmas_f32 v2, v2, v3, v5
	v_div_fixup_f32 v40, v2, s4, 1.0
	s_mov_b64 s[4:5], 0
	s_mov_b64 s[6:7], 0x7f800000
	;; [unrolled: 1-line block ×3, first 2 shown]
	s_movk_i32 s25, 0x78
	s_movk_i32 s26, 0x80
	v_mov_b32_e32 v41, 0x77
	v_mov_b32_e32 v42, 0xffffff8a
	s_branch .LBB5_32
.LBB5_28:                               ;   in Loop: Header=BB5_32 Depth=1
	s_or_b64 exec, exec, s[0:1]
	v_lshrrev_b64 v[2:3], 20, v[2:3]
	v_cmp_gt_i32_e32 vcc, 16, v5
	v_and_b32_sdwa v4, v4, s26 dst_sel:DWORD dst_unused:UNUSED_PAD src0_sel:BYTE_3 src1_sel:DWORD
	v_min_i32_e32 v6, 15, v5
	v_cndmask_b32_e32 v3, 0, v3, vcc
	v_cndmask_b32_e32 v2, 7, v2, vcc
	v_cmp_eq_u32_e32 vcc, 0, v5
	v_cmp_eq_u64_e64 s[0:1], 0, v[2:3]
	v_lshl_or_b32 v3, v6, 3, v4
	v_and_or_b32 v2, v2, 7, v3
	s_and_b64 s[0:1], vcc, s[0:1]
	v_cndmask_b32_e64 v2, v2, 0, s[0:1]
.LBB5_29:                               ;   in Loop: Header=BB5_32 Depth=1
	s_or_b64 exec, exec, s[16:17]
.LBB5_30:                               ;   in Loop: Header=BB5_32 Depth=1
	s_andn2_saveexec_b64 s[0:1], s[14:15]
	s_or_b64 exec, exec, s[0:1]
.LBB5_31:                               ;   in Loop: Header=BB5_32 Depth=1
	s_andn2_saveexec_b64 s[0:1], s[12:13]
	s_or_b64 exec, exec, s[0:1]
	s_add_u32 s8, s8, s23
	s_addc_u32 s9, s9, 0
	v_add_u32_e32 v0, s20, v0
	s_add_u32 s18, s18, s23
	s_addc_u32 s19, s19, 0
	v_cmp_le_i32_e32 vcc, s21, v0
	v_add_u32_e32 v3, 15, v37
	s_or_b64 s[4:5], vcc, s[4:5]
	v_add_u32_e32 v37, s22, v37
	global_store_byte v3, v2, s[2:3]
	s_andn2_b64 exec, exec, s[4:5]
	s_cbranch_execz .LBB5_189
.LBB5_32:                               ; =>This Inner Loop Header: Depth=1
	v_mov_b32_e32 v2, s19
	v_add_co_u32_e32 v38, vcc, s18, v36
	v_addc_co_u32_e32 v39, vcc, 0, v2, vcc
	global_load_dwordx4 v[26:29], v[38:39], off
	v_mov_b32_e32 v2, s9
	v_add_co_u32_e32 v44, vcc, s8, v36
	v_addc_co_u32_e32 v45, vcc, 0, v2, vcc
	global_load_dwordx4 v[30:33], v[44:45], off
	global_load_dwordx4 v[18:21], v[38:39], off offset:16
	global_load_dwordx4 v[22:25], v[44:45], off offset:16
	global_load_dwordx4 v[2:5], v[38:39], off offset:48
	global_load_dwordx4 v[10:13], v[38:39], off offset:32
	global_load_dwordx4 v[6:9], v[44:45], off offset:48
	global_load_dwordx4 v[14:17], v[44:45], off offset:32
	s_waitcnt vmcnt(7)
	v_mul_f32_e32 v26, v26, v1
	s_waitcnt vmcnt(6)
	v_mul_f32_e32 v26, v26, v30
	v_mul_f32_e32 v26, v40, v26
	v_min_f32_e32 v26, 0x43600000, v26
	v_max_f32_e32 v26, 0xc3600000, v26
	v_and_b32_e32 v34, 0x7f800000, v26
	v_or_b32_sdwa v30, v26, s24 dst_sel:DWORD dst_unused:UNUSED_PAD src0_sel:BYTE_3 src1_sel:DWORD
	v_cmp_ne_u64_e32 vcc, s[6:7], v[34:35]
	s_and_saveexec_b64 s[0:1], vcc
	s_xor_b64 s[12:13], exec, s[0:1]
	s_cbranch_execz .LBB5_42
; %bb.33:                               ;   in Loop: Header=BB5_32 Depth=1
	v_and_b32_e32 v34, 0x7fffffff, v26
	v_cmp_gt_u64_e32 vcc, s[10:11], v[34:35]
	s_and_saveexec_b64 s[0:1], vcc
	s_xor_b64 s[14:15], exec, s[0:1]
	s_cbranch_execz .LBB5_41
; %bb.34:                               ;   in Loop: Header=BB5_32 Depth=1
	v_cmp_ne_u32_e32 vcc, 0, v26
	v_mov_b32_e32 v30, 0
	s_and_saveexec_b64 s[16:17], vcc
	s_cbranch_execz .LBB5_40
; %bb.35:                               ;   in Loop: Header=BB5_32 Depth=1
	v_bfe_u32 v34, v26, 23, 8
	v_and_b32_e32 v30, 0x7fffff, v26
	v_sub_u32_e64 v38, s25, v34 clamp
	v_cmp_eq_u32_e32 vcc, 0, v34
	v_or_b32_e32 v39, 0x800000, v30
	v_cndmask_b32_e32 v46, v38, v41, vcc
	v_add_u32_e32 v43, 0xffffff89, v34
	v_cndmask_b32_e32 v34, v39, v30, vcc
	v_add_u32_e32 v30, 20, v46
	v_lshlrev_b64 v[38:39], v30, -1
	v_not_b32_e32 v30, v38
	v_and_b32_e32 v38, v34, v30
	v_add_u32_e32 v30, 19, v46
	v_mov_b32_e32 v39, v35
	v_lshlrev_b64 v[44:45], v30, 1
	v_cmp_eq_u64_e64 s[0:1], v[38:39], v[44:45]
	v_lshrrev_b64 v[38:39], v46, v[34:35]
	v_cndmask_b32_e32 v30, v43, v42, vcc
	v_lshrrev_b32_e32 v34, 23, v38
	v_add3_u32 v43, v30, v46, v34
	v_and_b32_e32 v34, 0x100000, v38
	v_cmp_eq_u64_e32 vcc, 0, v[34:35]
	s_and_b64 vcc, vcc, s[0:1]
	v_subbrev_co_u32_e32 v30, vcc, 0, v38, vcc
	v_and_b32_e32 v30, 0xfffff, v30
	v_add_co_u32_e32 v38, vcc, v30, v38
	v_add_u32_e32 v44, -1, v43
	v_addc_co_u32_e32 v39, vcc, 0, v39, vcc
	v_cmp_ne_u32_e32 vcc, 0, v44
                                        ; implicit-def: $vgpr30
	s_and_saveexec_b64 s[0:1], vcc
	s_xor_b64 s[0:1], exec, s[0:1]
; %bb.36:                               ;   in Loop: Header=BB5_32 Depth=1
	v_and_b32_e32 v34, 0x1000000, v38
	v_cmp_eq_u64_e32 vcc, 0, v[34:35]
	v_bfe_u32 v34, v38, 24, 1
	v_cndmask_b32_e32 v30, v43, v44, vcc
	v_lshrrev_b64 v[38:39], v34, v[38:39]
; %bb.37:                               ;   in Loop: Header=BB5_32 Depth=1
	s_andn2_saveexec_b64 s[0:1], s[0:1]
; %bb.38:                               ;   in Loop: Header=BB5_32 Depth=1
	v_bfe_u32 v30, v38, 23, 1
; %bb.39:                               ;   in Loop: Header=BB5_32 Depth=1
	s_or_b64 exec, exec, s[0:1]
	v_lshrrev_b64 v[38:39], 20, v[38:39]
	v_cmp_gt_i32_e32 vcc, 16, v30
	v_and_b32_sdwa v26, v26, s26 dst_sel:DWORD dst_unused:UNUSED_PAD src0_sel:BYTE_3 src1_sel:DWORD
	v_min_i32_e32 v34, 15, v30
	v_cndmask_b32_e32 v39, 0, v39, vcc
	v_cndmask_b32_e32 v38, 7, v38, vcc
	v_cmp_eq_u32_e32 vcc, 0, v30
	v_cmp_eq_u64_e64 s[0:1], 0, v[38:39]
	v_lshl_or_b32 v26, v34, 3, v26
	v_and_or_b32 v26, v38, 7, v26
	s_and_b64 s[0:1], vcc, s[0:1]
	v_cndmask_b32_e64 v30, v26, 0, s[0:1]
.LBB5_40:                               ;   in Loop: Header=BB5_32 Depth=1
	s_or_b64 exec, exec, s[16:17]
.LBB5_41:                               ;   in Loop: Header=BB5_32 Depth=1
	s_andn2_saveexec_b64 s[0:1], s[14:15]
	s_or_b64 exec, exec, s[0:1]
.LBB5_42:                               ;   in Loop: Header=BB5_32 Depth=1
	s_andn2_saveexec_b64 s[0:1], s[12:13]
	s_or_b64 exec, exec, s[0:1]
	v_mul_f32_e32 v26, v27, v1
	v_mul_f32_e32 v26, v26, v31
	;; [unrolled: 1-line block ×3, first 2 shown]
	v_min_f32_e32 v26, 0x43600000, v26
	global_store_byte v37, v30, s[2:3]
	v_max_f32_e32 v30, 0xc3600000, v26
	v_and_b32_e32 v34, 0x7f800000, v30
	v_or_b32_sdwa v26, v30, s24 dst_sel:DWORD dst_unused:UNUSED_PAD src0_sel:BYTE_3 src1_sel:DWORD
	v_cmp_ne_u64_e32 vcc, s[6:7], v[34:35]
	s_and_saveexec_b64 s[0:1], vcc
	s_xor_b64 s[12:13], exec, s[0:1]
	s_cbranch_execz .LBB5_52
; %bb.43:                               ;   in Loop: Header=BB5_32 Depth=1
	v_and_b32_e32 v34, 0x7fffffff, v30
	v_cmp_gt_u64_e32 vcc, s[10:11], v[34:35]
	s_and_saveexec_b64 s[0:1], vcc
	s_xor_b64 s[14:15], exec, s[0:1]
	s_cbranch_execz .LBB5_51
; %bb.44:                               ;   in Loop: Header=BB5_32 Depth=1
	v_cmp_ne_u32_e32 vcc, 0, v30
	v_mov_b32_e32 v26, 0
	s_and_saveexec_b64 s[16:17], vcc
	s_cbranch_execz .LBB5_50
; %bb.45:                               ;   in Loop: Header=BB5_32 Depth=1
	v_bfe_u32 v27, v30, 23, 8
	v_and_b32_e32 v26, 0x7fffff, v30
	v_sub_u32_e64 v31, s25, v27 clamp
	v_cmp_eq_u32_e32 vcc, 0, v27
	v_or_b32_e32 v34, 0x800000, v26
	v_cndmask_b32_e32 v31, v31, v41, vcc
	v_cndmask_b32_e32 v34, v34, v26, vcc
	v_add_u32_e32 v26, 20, v31
	v_add_u32_e32 v43, 0xffffff89, v27
	v_lshlrev_b64 v[26:27], v26, -1
	v_not_b32_e32 v26, v26
	v_add_u32_e32 v38, 19, v31
	v_and_b32_e32 v26, v34, v26
	v_mov_b32_e32 v27, v35
	v_lshlrev_b64 v[38:39], v38, 1
	v_cmp_eq_u64_e64 s[0:1], v[26:27], v[38:39]
	v_lshrrev_b64 v[26:27], v31, v[34:35]
	v_cndmask_b32_e32 v34, v43, v42, vcc
	v_lshrrev_b32_e32 v38, 23, v26
	v_add3_u32 v38, v34, v31, v38
	v_and_b32_e32 v34, 0x100000, v26
	v_cmp_eq_u64_e32 vcc, 0, v[34:35]
	s_and_b64 vcc, vcc, s[0:1]
	v_subbrev_co_u32_e32 v31, vcc, 0, v26, vcc
	v_and_b32_e32 v31, 0xfffff, v31
	v_add_co_u32_e32 v26, vcc, v31, v26
	v_add_u32_e32 v39, -1, v38
	v_addc_co_u32_e32 v27, vcc, 0, v27, vcc
	v_cmp_ne_u32_e32 vcc, 0, v39
                                        ; implicit-def: $vgpr31
	s_and_saveexec_b64 s[0:1], vcc
	s_xor_b64 s[0:1], exec, s[0:1]
; %bb.46:                               ;   in Loop: Header=BB5_32 Depth=1
	v_and_b32_e32 v34, 0x1000000, v26
	v_cmp_eq_u64_e32 vcc, 0, v[34:35]
	v_bfe_u32 v34, v26, 24, 1
	v_cndmask_b32_e32 v31, v38, v39, vcc
	v_lshrrev_b64 v[26:27], v34, v[26:27]
; %bb.47:                               ;   in Loop: Header=BB5_32 Depth=1
	s_andn2_saveexec_b64 s[0:1], s[0:1]
; %bb.48:                               ;   in Loop: Header=BB5_32 Depth=1
	v_bfe_u32 v31, v26, 23, 1
; %bb.49:                               ;   in Loop: Header=BB5_32 Depth=1
	s_or_b64 exec, exec, s[0:1]
	v_lshrrev_b64 v[26:27], 20, v[26:27]
	v_cmp_gt_i32_e32 vcc, 16, v31
	v_and_b32_sdwa v30, v30, s26 dst_sel:DWORD dst_unused:UNUSED_PAD src0_sel:BYTE_3 src1_sel:DWORD
	v_min_i32_e32 v34, 15, v31
	v_cndmask_b32_e32 v27, 0, v27, vcc
	v_cndmask_b32_e32 v26, 7, v26, vcc
	v_cmp_eq_u32_e32 vcc, 0, v31
	v_cmp_eq_u64_e64 s[0:1], 0, v[26:27]
	v_lshl_or_b32 v27, v34, 3, v30
	v_and_or_b32 v26, v26, 7, v27
	s_and_b64 s[0:1], vcc, s[0:1]
	v_cndmask_b32_e64 v26, v26, 0, s[0:1]
.LBB5_50:                               ;   in Loop: Header=BB5_32 Depth=1
	s_or_b64 exec, exec, s[16:17]
.LBB5_51:                               ;   in Loop: Header=BB5_32 Depth=1
	s_andn2_saveexec_b64 s[0:1], s[14:15]
	s_or_b64 exec, exec, s[0:1]
.LBB5_52:                               ;   in Loop: Header=BB5_32 Depth=1
	s_andn2_saveexec_b64 s[0:1], s[12:13]
	s_or_b64 exec, exec, s[0:1]
	v_add_u32_e32 v27, 1, v37
	global_store_byte v27, v26, s[2:3]
	v_mul_f32_e32 v26, v28, v1
	v_mul_f32_e32 v26, v26, v32
	;; [unrolled: 1-line block ×3, first 2 shown]
	v_min_f32_e32 v26, 0x43600000, v26
	v_max_f32_e32 v28, 0xc3600000, v26
	v_and_b32_e32 v34, 0x7f800000, v28
	v_or_b32_sdwa v26, v28, s24 dst_sel:DWORD dst_unused:UNUSED_PAD src0_sel:BYTE_3 src1_sel:DWORD
	v_cmp_ne_u64_e32 vcc, s[6:7], v[34:35]
	s_and_saveexec_b64 s[0:1], vcc
	s_xor_b64 s[12:13], exec, s[0:1]
	s_cbranch_execz .LBB5_62
; %bb.53:                               ;   in Loop: Header=BB5_32 Depth=1
	v_and_b32_e32 v34, 0x7fffffff, v28
	v_cmp_gt_u64_e32 vcc, s[10:11], v[34:35]
	s_and_saveexec_b64 s[0:1], vcc
	s_xor_b64 s[14:15], exec, s[0:1]
	s_cbranch_execz .LBB5_61
; %bb.54:                               ;   in Loop: Header=BB5_32 Depth=1
	v_cmp_ne_u32_e32 vcc, 0, v28
	v_mov_b32_e32 v26, 0
	s_and_saveexec_b64 s[16:17], vcc
	s_cbranch_execz .LBB5_60
; %bb.55:                               ;   in Loop: Header=BB5_32 Depth=1
	v_bfe_u32 v27, v28, 23, 8
	v_and_b32_e32 v26, 0x7fffff, v28
	v_sub_u32_e64 v30, s25, v27 clamp
	v_cmp_eq_u32_e32 vcc, 0, v27
	v_or_b32_e32 v31, 0x800000, v26
	v_cndmask_b32_e32 v38, v30, v41, vcc
	v_cndmask_b32_e32 v34, v31, v26, vcc
	v_add_u32_e32 v26, 20, v38
	v_add_u32_e32 v32, 0xffffff89, v27
	v_lshlrev_b64 v[26:27], v26, -1
	v_not_b32_e32 v26, v26
	v_add_u32_e32 v30, 19, v38
	v_and_b32_e32 v26, v34, v26
	v_mov_b32_e32 v27, v35
	v_lshlrev_b64 v[30:31], v30, 1
	v_cmp_eq_u64_e64 s[0:1], v[26:27], v[30:31]
	v_lshrrev_b64 v[26:27], v38, v[34:35]
	v_and_b32_e32 v34, 0x100000, v26
	v_cndmask_b32_e32 v30, v32, v42, vcc
	v_cmp_eq_u64_e32 vcc, 0, v[34:35]
	v_lshrrev_b32_e32 v31, 23, v26
	s_and_b64 vcc, vcc, s[0:1]
	v_add3_u32 v31, v30, v38, v31
	v_subbrev_co_u32_e32 v30, vcc, 0, v26, vcc
	v_and_b32_e32 v30, 0xfffff, v30
	v_add_co_u32_e32 v26, vcc, v30, v26
	v_add_u32_e32 v32, -1, v31
	v_addc_co_u32_e32 v27, vcc, 0, v27, vcc
	v_cmp_ne_u32_e32 vcc, 0, v32
                                        ; implicit-def: $vgpr30
	s_and_saveexec_b64 s[0:1], vcc
	s_xor_b64 s[0:1], exec, s[0:1]
; %bb.56:                               ;   in Loop: Header=BB5_32 Depth=1
	v_and_b32_e32 v34, 0x1000000, v26
	v_cmp_eq_u64_e32 vcc, 0, v[34:35]
	v_cndmask_b32_e32 v30, v31, v32, vcc
	v_bfe_u32 v31, v26, 24, 1
	v_lshrrev_b64 v[26:27], v31, v[26:27]
; %bb.57:                               ;   in Loop: Header=BB5_32 Depth=1
	s_andn2_saveexec_b64 s[0:1], s[0:1]
; %bb.58:                               ;   in Loop: Header=BB5_32 Depth=1
	v_bfe_u32 v30, v26, 23, 1
; %bb.59:                               ;   in Loop: Header=BB5_32 Depth=1
	s_or_b64 exec, exec, s[0:1]
	v_lshrrev_b64 v[26:27], 20, v[26:27]
	v_cmp_gt_i32_e32 vcc, 16, v30
	v_and_b32_sdwa v28, v28, s26 dst_sel:DWORD dst_unused:UNUSED_PAD src0_sel:BYTE_3 src1_sel:DWORD
	v_min_i32_e32 v31, 15, v30
	v_cndmask_b32_e32 v27, 0, v27, vcc
	v_cndmask_b32_e32 v26, 7, v26, vcc
	v_cmp_eq_u32_e32 vcc, 0, v30
	v_cmp_eq_u64_e64 s[0:1], 0, v[26:27]
	v_lshl_or_b32 v27, v31, 3, v28
	v_and_or_b32 v26, v26, 7, v27
	s_and_b64 s[0:1], vcc, s[0:1]
	v_cndmask_b32_e64 v26, v26, 0, s[0:1]
.LBB5_60:                               ;   in Loop: Header=BB5_32 Depth=1
	s_or_b64 exec, exec, s[16:17]
.LBB5_61:                               ;   in Loop: Header=BB5_32 Depth=1
	s_andn2_saveexec_b64 s[0:1], s[14:15]
	s_or_b64 exec, exec, s[0:1]
.LBB5_62:                               ;   in Loop: Header=BB5_32 Depth=1
	s_andn2_saveexec_b64 s[0:1], s[12:13]
	s_or_b64 exec, exec, s[0:1]
	v_add_u32_e32 v27, 2, v37
	global_store_byte v27, v26, s[2:3]
	v_mul_f32_e32 v26, v29, v1
	v_mul_f32_e32 v26, v26, v33
	v_mul_f32_e32 v26, v40, v26
	v_min_f32_e32 v26, 0x43600000, v26
	v_max_f32_e32 v28, 0xc3600000, v26
	v_and_b32_e32 v34, 0x7f800000, v28
	v_or_b32_sdwa v26, v28, s24 dst_sel:DWORD dst_unused:UNUSED_PAD src0_sel:BYTE_3 src1_sel:DWORD
	v_cmp_ne_u64_e32 vcc, s[6:7], v[34:35]
	s_and_saveexec_b64 s[0:1], vcc
	s_xor_b64 s[12:13], exec, s[0:1]
	s_cbranch_execz .LBB5_72
; %bb.63:                               ;   in Loop: Header=BB5_32 Depth=1
	v_and_b32_e32 v34, 0x7fffffff, v28
	v_cmp_gt_u64_e32 vcc, s[10:11], v[34:35]
	s_and_saveexec_b64 s[0:1], vcc
	s_xor_b64 s[14:15], exec, s[0:1]
	s_cbranch_execz .LBB5_71
; %bb.64:                               ;   in Loop: Header=BB5_32 Depth=1
	v_cmp_ne_u32_e32 vcc, 0, v28
	v_mov_b32_e32 v26, 0
	s_and_saveexec_b64 s[16:17], vcc
	s_cbranch_execz .LBB5_70
; %bb.65:                               ;   in Loop: Header=BB5_32 Depth=1
	v_bfe_u32 v27, v28, 23, 8
	v_and_b32_e32 v26, 0x7fffff, v28
	v_sub_u32_e64 v29, s25, v27 clamp
	v_cmp_eq_u32_e32 vcc, 0, v27
	v_or_b32_e32 v30, 0x800000, v26
	v_cndmask_b32_e32 v29, v29, v41, vcc
	v_cndmask_b32_e32 v34, v30, v26, vcc
	v_add_u32_e32 v26, 20, v29
	v_add_u32_e32 v32, 0xffffff89, v27
	v_lshlrev_b64 v[26:27], v26, -1
	v_not_b32_e32 v26, v26
	v_add_u32_e32 v30, 19, v29
	v_and_b32_e32 v26, v34, v26
	v_mov_b32_e32 v27, v35
	v_lshlrev_b64 v[30:31], v30, 1
	v_cmp_eq_u64_e64 s[0:1], v[26:27], v[30:31]
	v_lshrrev_b64 v[26:27], v29, v[34:35]
	v_and_b32_e32 v34, 0x100000, v26
	v_cndmask_b32_e32 v30, v32, v42, vcc
	v_cmp_eq_u64_e32 vcc, 0, v[34:35]
	v_lshrrev_b32_e32 v31, 23, v26
	s_and_b64 vcc, vcc, s[0:1]
	v_add3_u32 v30, v30, v29, v31
	v_subbrev_co_u32_e32 v29, vcc, 0, v26, vcc
	v_and_b32_e32 v29, 0xfffff, v29
	v_add_co_u32_e32 v26, vcc, v29, v26
	v_add_u32_e32 v31, -1, v30
	v_addc_co_u32_e32 v27, vcc, 0, v27, vcc
	v_cmp_ne_u32_e32 vcc, 0, v31
                                        ; implicit-def: $vgpr29
	s_and_saveexec_b64 s[0:1], vcc
	s_xor_b64 s[0:1], exec, s[0:1]
; %bb.66:                               ;   in Loop: Header=BB5_32 Depth=1
	v_and_b32_e32 v34, 0x1000000, v26
	v_cmp_eq_u64_e32 vcc, 0, v[34:35]
	v_cndmask_b32_e32 v29, v30, v31, vcc
	v_bfe_u32 v30, v26, 24, 1
	v_lshrrev_b64 v[26:27], v30, v[26:27]
; %bb.67:                               ;   in Loop: Header=BB5_32 Depth=1
	s_andn2_saveexec_b64 s[0:1], s[0:1]
; %bb.68:                               ;   in Loop: Header=BB5_32 Depth=1
	v_bfe_u32 v29, v26, 23, 1
; %bb.69:                               ;   in Loop: Header=BB5_32 Depth=1
	s_or_b64 exec, exec, s[0:1]
	v_lshrrev_b64 v[26:27], 20, v[26:27]
	v_cmp_gt_i32_e32 vcc, 16, v29
	v_and_b32_sdwa v28, v28, s26 dst_sel:DWORD dst_unused:UNUSED_PAD src0_sel:BYTE_3 src1_sel:DWORD
	v_min_i32_e32 v30, 15, v29
	v_cndmask_b32_e32 v27, 0, v27, vcc
	v_cndmask_b32_e32 v26, 7, v26, vcc
	v_cmp_eq_u32_e32 vcc, 0, v29
	v_cmp_eq_u64_e64 s[0:1], 0, v[26:27]
	v_lshl_or_b32 v27, v30, 3, v28
	v_and_or_b32 v26, v26, 7, v27
	s_and_b64 s[0:1], vcc, s[0:1]
	v_cndmask_b32_e64 v26, v26, 0, s[0:1]
.LBB5_70:                               ;   in Loop: Header=BB5_32 Depth=1
	s_or_b64 exec, exec, s[16:17]
.LBB5_71:                               ;   in Loop: Header=BB5_32 Depth=1
	s_andn2_saveexec_b64 s[0:1], s[14:15]
	s_or_b64 exec, exec, s[0:1]
.LBB5_72:                               ;   in Loop: Header=BB5_32 Depth=1
	s_andn2_saveexec_b64 s[0:1], s[12:13]
	s_or_b64 exec, exec, s[0:1]
	s_waitcnt vmcnt(8)
	v_mul_f32_e32 v18, v18, v1
	s_waitcnt vmcnt(7)
	v_mul_f32_e32 v18, v18, v22
	v_mul_f32_e32 v18, v40, v18
	v_min_f32_e32 v18, 0x43600000, v18
	v_max_f32_e32 v18, 0xc3600000, v18
	v_and_b32_e32 v34, 0x7f800000, v18
	v_add_u32_e32 v27, 3, v37
	v_or_b32_sdwa v22, v18, s24 dst_sel:DWORD dst_unused:UNUSED_PAD src0_sel:BYTE_3 src1_sel:DWORD
	v_cmp_ne_u64_e32 vcc, s[6:7], v[34:35]
	global_store_byte v27, v26, s[2:3]
	s_and_saveexec_b64 s[0:1], vcc
	s_xor_b64 s[12:13], exec, s[0:1]
	s_cbranch_execz .LBB5_82
; %bb.73:                               ;   in Loop: Header=BB5_32 Depth=1
	v_and_b32_e32 v34, 0x7fffffff, v18
	v_cmp_gt_u64_e32 vcc, s[10:11], v[34:35]
	s_and_saveexec_b64 s[0:1], vcc
	s_xor_b64 s[14:15], exec, s[0:1]
	s_cbranch_execz .LBB5_81
; %bb.74:                               ;   in Loop: Header=BB5_32 Depth=1
	v_cmp_ne_u32_e32 vcc, 0, v18
	v_mov_b32_e32 v22, 0
	s_and_saveexec_b64 s[16:17], vcc
	s_cbranch_execz .LBB5_80
; %bb.75:                               ;   in Loop: Header=BB5_32 Depth=1
	v_bfe_u32 v26, v18, 23, 8
	v_and_b32_e32 v22, 0x7fffff, v18
	v_sub_u32_e64 v27, s25, v26 clamp
	v_cmp_eq_u32_e32 vcc, 0, v26
	v_or_b32_e32 v28, 0x800000, v22
	v_cndmask_b32_e32 v31, v27, v41, vcc
	v_cndmask_b32_e32 v34, v28, v22, vcc
	v_add_u32_e32 v22, 20, v31
	v_add_u32_e32 v30, 0xffffff89, v26
	v_lshlrev_b64 v[26:27], v22, -1
	v_not_b32_e32 v22, v26
	v_and_b32_e32 v26, v34, v22
	v_add_u32_e32 v22, 19, v31
	v_mov_b32_e32 v27, v35
	v_lshlrev_b64 v[28:29], v22, 1
	v_cmp_eq_u64_e64 s[0:1], v[26:27], v[28:29]
	v_lshrrev_b64 v[26:27], v31, v[34:35]
	v_and_b32_e32 v34, 0x100000, v26
	v_cndmask_b32_e32 v22, v30, v42, vcc
	v_cmp_eq_u64_e32 vcc, 0, v[34:35]
	v_lshrrev_b32_e32 v28, 23, v26
	s_and_b64 vcc, vcc, s[0:1]
	v_add3_u32 v28, v22, v31, v28
	v_subbrev_co_u32_e32 v22, vcc, 0, v26, vcc
	v_and_b32_e32 v22, 0xfffff, v22
	v_add_co_u32_e32 v26, vcc, v22, v26
	v_add_u32_e32 v29, -1, v28
	v_addc_co_u32_e32 v27, vcc, 0, v27, vcc
	v_cmp_ne_u32_e32 vcc, 0, v29
                                        ; implicit-def: $vgpr22
	s_and_saveexec_b64 s[0:1], vcc
	s_xor_b64 s[0:1], exec, s[0:1]
; %bb.76:                               ;   in Loop: Header=BB5_32 Depth=1
	v_and_b32_e32 v34, 0x1000000, v26
	v_cmp_eq_u64_e32 vcc, 0, v[34:35]
	v_cndmask_b32_e32 v22, v28, v29, vcc
	v_bfe_u32 v28, v26, 24, 1
	v_lshrrev_b64 v[26:27], v28, v[26:27]
; %bb.77:                               ;   in Loop: Header=BB5_32 Depth=1
	s_andn2_saveexec_b64 s[0:1], s[0:1]
; %bb.78:                               ;   in Loop: Header=BB5_32 Depth=1
	v_bfe_u32 v22, v26, 23, 1
; %bb.79:                               ;   in Loop: Header=BB5_32 Depth=1
	s_or_b64 exec, exec, s[0:1]
	v_lshrrev_b64 v[26:27], 20, v[26:27]
	v_cmp_gt_i32_e32 vcc, 16, v22
	v_and_b32_sdwa v18, v18, s26 dst_sel:DWORD dst_unused:UNUSED_PAD src0_sel:BYTE_3 src1_sel:DWORD
	v_min_i32_e32 v28, 15, v22
	v_cndmask_b32_e32 v27, 0, v27, vcc
	v_cndmask_b32_e32 v26, 7, v26, vcc
	v_cmp_eq_u32_e32 vcc, 0, v22
	v_cmp_eq_u64_e64 s[0:1], 0, v[26:27]
	v_lshl_or_b32 v18, v28, 3, v18
	v_and_or_b32 v18, v26, 7, v18
	s_and_b64 s[0:1], vcc, s[0:1]
	v_cndmask_b32_e64 v22, v18, 0, s[0:1]
.LBB5_80:                               ;   in Loop: Header=BB5_32 Depth=1
	s_or_b64 exec, exec, s[16:17]
.LBB5_81:                               ;   in Loop: Header=BB5_32 Depth=1
	s_andn2_saveexec_b64 s[0:1], s[14:15]
	s_or_b64 exec, exec, s[0:1]
.LBB5_82:                               ;   in Loop: Header=BB5_32 Depth=1
	s_andn2_saveexec_b64 s[0:1], s[12:13]
	s_or_b64 exec, exec, s[0:1]
	v_add_u32_e32 v18, 4, v37
	global_store_byte v18, v22, s[2:3]
	v_mul_f32_e32 v18, v19, v1
	v_mul_f32_e32 v18, v18, v23
	;; [unrolled: 1-line block ×3, first 2 shown]
	v_min_f32_e32 v18, 0x43600000, v18
	v_max_f32_e32 v22, 0xc3600000, v18
	v_and_b32_e32 v34, 0x7f800000, v22
	v_or_b32_sdwa v18, v22, s24 dst_sel:DWORD dst_unused:UNUSED_PAD src0_sel:BYTE_3 src1_sel:DWORD
	v_cmp_ne_u64_e32 vcc, s[6:7], v[34:35]
	s_and_saveexec_b64 s[0:1], vcc
	s_xor_b64 s[12:13], exec, s[0:1]
	s_cbranch_execz .LBB5_92
; %bb.83:                               ;   in Loop: Header=BB5_32 Depth=1
	v_and_b32_e32 v34, 0x7fffffff, v22
	v_cmp_gt_u64_e32 vcc, s[10:11], v[34:35]
	s_and_saveexec_b64 s[0:1], vcc
	s_xor_b64 s[14:15], exec, s[0:1]
	s_cbranch_execz .LBB5_91
; %bb.84:                               ;   in Loop: Header=BB5_32 Depth=1
	v_cmp_ne_u32_e32 vcc, 0, v22
	v_mov_b32_e32 v18, 0
	s_and_saveexec_b64 s[16:17], vcc
	s_cbranch_execz .LBB5_90
; %bb.85:                               ;   in Loop: Header=BB5_32 Depth=1
	v_bfe_u32 v19, v22, 23, 8
	v_and_b32_e32 v18, 0x7fffff, v22
	v_sub_u32_e64 v23, s25, v19 clamp
	v_cmp_eq_u32_e32 vcc, 0, v19
	v_or_b32_e32 v26, 0x800000, v18
	v_cndmask_b32_e32 v23, v23, v41, vcc
	v_cndmask_b32_e32 v34, v26, v18, vcc
	v_add_u32_e32 v18, 20, v23
	v_add_u32_e32 v28, 0xffffff89, v19
	v_lshlrev_b64 v[18:19], v18, -1
	v_not_b32_e32 v18, v18
	v_add_u32_e32 v26, 19, v23
	v_and_b32_e32 v18, v34, v18
	v_mov_b32_e32 v19, v35
	v_lshlrev_b64 v[26:27], v26, 1
	v_cmp_eq_u64_e64 s[0:1], v[18:19], v[26:27]
	v_lshrrev_b64 v[18:19], v23, v[34:35]
	v_and_b32_e32 v34, 0x100000, v18
	v_cndmask_b32_e32 v26, v28, v42, vcc
	v_cmp_eq_u64_e32 vcc, 0, v[34:35]
	v_lshrrev_b32_e32 v27, 23, v18
	s_and_b64 vcc, vcc, s[0:1]
	v_add3_u32 v26, v26, v23, v27
	v_subbrev_co_u32_e32 v23, vcc, 0, v18, vcc
	v_and_b32_e32 v23, 0xfffff, v23
	v_add_co_u32_e32 v18, vcc, v23, v18
	v_add_u32_e32 v27, -1, v26
	v_addc_co_u32_e32 v19, vcc, 0, v19, vcc
	v_cmp_ne_u32_e32 vcc, 0, v27
                                        ; implicit-def: $vgpr23
	s_and_saveexec_b64 s[0:1], vcc
	s_xor_b64 s[0:1], exec, s[0:1]
; %bb.86:                               ;   in Loop: Header=BB5_32 Depth=1
	v_and_b32_e32 v34, 0x1000000, v18
	v_cmp_eq_u64_e32 vcc, 0, v[34:35]
	v_cndmask_b32_e32 v23, v26, v27, vcc
	v_bfe_u32 v26, v18, 24, 1
	v_lshrrev_b64 v[18:19], v26, v[18:19]
; %bb.87:                               ;   in Loop: Header=BB5_32 Depth=1
	s_andn2_saveexec_b64 s[0:1], s[0:1]
; %bb.88:                               ;   in Loop: Header=BB5_32 Depth=1
	v_bfe_u32 v23, v18, 23, 1
; %bb.89:                               ;   in Loop: Header=BB5_32 Depth=1
	s_or_b64 exec, exec, s[0:1]
	v_lshrrev_b64 v[18:19], 20, v[18:19]
	v_cmp_gt_i32_e32 vcc, 16, v23
	v_and_b32_sdwa v22, v22, s26 dst_sel:DWORD dst_unused:UNUSED_PAD src0_sel:BYTE_3 src1_sel:DWORD
	v_min_i32_e32 v26, 15, v23
	v_cndmask_b32_e32 v19, 0, v19, vcc
	v_cndmask_b32_e32 v18, 7, v18, vcc
	v_cmp_eq_u32_e32 vcc, 0, v23
	v_cmp_eq_u64_e64 s[0:1], 0, v[18:19]
	v_lshl_or_b32 v19, v26, 3, v22
	v_and_or_b32 v18, v18, 7, v19
	s_and_b64 s[0:1], vcc, s[0:1]
	v_cndmask_b32_e64 v18, v18, 0, s[0:1]
.LBB5_90:                               ;   in Loop: Header=BB5_32 Depth=1
	s_or_b64 exec, exec, s[16:17]
.LBB5_91:                               ;   in Loop: Header=BB5_32 Depth=1
	s_andn2_saveexec_b64 s[0:1], s[14:15]
	s_or_b64 exec, exec, s[0:1]
.LBB5_92:                               ;   in Loop: Header=BB5_32 Depth=1
	s_andn2_saveexec_b64 s[0:1], s[12:13]
	s_or_b64 exec, exec, s[0:1]
	v_add_u32_e32 v19, 5, v37
	global_store_byte v19, v18, s[2:3]
	v_mul_f32_e32 v18, v20, v1
	v_mul_f32_e32 v18, v18, v24
	;; [unrolled: 1-line block ×3, first 2 shown]
	v_min_f32_e32 v18, 0x43600000, v18
	v_max_f32_e32 v20, 0xc3600000, v18
	v_and_b32_e32 v34, 0x7f800000, v20
	v_or_b32_sdwa v18, v20, s24 dst_sel:DWORD dst_unused:UNUSED_PAD src0_sel:BYTE_3 src1_sel:DWORD
	v_cmp_ne_u64_e32 vcc, s[6:7], v[34:35]
	s_and_saveexec_b64 s[0:1], vcc
	s_xor_b64 s[12:13], exec, s[0:1]
	s_cbranch_execz .LBB5_102
; %bb.93:                               ;   in Loop: Header=BB5_32 Depth=1
	v_and_b32_e32 v34, 0x7fffffff, v20
	v_cmp_gt_u64_e32 vcc, s[10:11], v[34:35]
	s_and_saveexec_b64 s[0:1], vcc
	s_xor_b64 s[14:15], exec, s[0:1]
	s_cbranch_execz .LBB5_101
; %bb.94:                               ;   in Loop: Header=BB5_32 Depth=1
	v_cmp_ne_u32_e32 vcc, 0, v20
	v_mov_b32_e32 v18, 0
	s_and_saveexec_b64 s[16:17], vcc
	s_cbranch_execz .LBB5_100
; %bb.95:                               ;   in Loop: Header=BB5_32 Depth=1
	v_bfe_u32 v19, v20, 23, 8
	v_and_b32_e32 v18, 0x7fffff, v20
	v_sub_u32_e64 v22, s25, v19 clamp
	v_cmp_eq_u32_e32 vcc, 0, v19
	v_or_b32_e32 v23, 0x800000, v18
	v_cndmask_b32_e32 v26, v22, v41, vcc
	v_cndmask_b32_e32 v34, v23, v18, vcc
	v_add_u32_e32 v18, 20, v26
	v_add_u32_e32 v24, 0xffffff89, v19
	v_lshlrev_b64 v[18:19], v18, -1
	v_not_b32_e32 v18, v18
	v_add_u32_e32 v22, 19, v26
	v_and_b32_e32 v18, v34, v18
	v_mov_b32_e32 v19, v35
	v_lshlrev_b64 v[22:23], v22, 1
	v_cmp_eq_u64_e64 s[0:1], v[18:19], v[22:23]
	v_lshrrev_b64 v[18:19], v26, v[34:35]
	v_and_b32_e32 v34, 0x100000, v18
	v_cndmask_b32_e32 v22, v24, v42, vcc
	v_cmp_eq_u64_e32 vcc, 0, v[34:35]
	v_lshrrev_b32_e32 v23, 23, v18
	s_and_b64 vcc, vcc, s[0:1]
	v_add3_u32 v23, v22, v26, v23
	v_subbrev_co_u32_e32 v22, vcc, 0, v18, vcc
	v_and_b32_e32 v22, 0xfffff, v22
	v_add_co_u32_e32 v18, vcc, v22, v18
	v_add_u32_e32 v24, -1, v23
	v_addc_co_u32_e32 v19, vcc, 0, v19, vcc
	v_cmp_ne_u32_e32 vcc, 0, v24
                                        ; implicit-def: $vgpr22
	s_and_saveexec_b64 s[0:1], vcc
	s_xor_b64 s[0:1], exec, s[0:1]
; %bb.96:                               ;   in Loop: Header=BB5_32 Depth=1
	v_and_b32_e32 v34, 0x1000000, v18
	v_cmp_eq_u64_e32 vcc, 0, v[34:35]
	v_cndmask_b32_e32 v22, v23, v24, vcc
	v_bfe_u32 v23, v18, 24, 1
	v_lshrrev_b64 v[18:19], v23, v[18:19]
; %bb.97:                               ;   in Loop: Header=BB5_32 Depth=1
	s_andn2_saveexec_b64 s[0:1], s[0:1]
; %bb.98:                               ;   in Loop: Header=BB5_32 Depth=1
	v_bfe_u32 v22, v18, 23, 1
; %bb.99:                               ;   in Loop: Header=BB5_32 Depth=1
	s_or_b64 exec, exec, s[0:1]
	v_lshrrev_b64 v[18:19], 20, v[18:19]
	v_cmp_gt_i32_e32 vcc, 16, v22
	v_and_b32_sdwa v20, v20, s26 dst_sel:DWORD dst_unused:UNUSED_PAD src0_sel:BYTE_3 src1_sel:DWORD
	v_min_i32_e32 v23, 15, v22
	v_cndmask_b32_e32 v19, 0, v19, vcc
	v_cndmask_b32_e32 v18, 7, v18, vcc
	v_cmp_eq_u32_e32 vcc, 0, v22
	v_cmp_eq_u64_e64 s[0:1], 0, v[18:19]
	v_lshl_or_b32 v19, v23, 3, v20
	v_and_or_b32 v18, v18, 7, v19
	s_and_b64 s[0:1], vcc, s[0:1]
	v_cndmask_b32_e64 v18, v18, 0, s[0:1]
.LBB5_100:                              ;   in Loop: Header=BB5_32 Depth=1
	s_or_b64 exec, exec, s[16:17]
.LBB5_101:                              ;   in Loop: Header=BB5_32 Depth=1
	s_andn2_saveexec_b64 s[0:1], s[14:15]
	s_or_b64 exec, exec, s[0:1]
.LBB5_102:                              ;   in Loop: Header=BB5_32 Depth=1
	s_andn2_saveexec_b64 s[0:1], s[12:13]
	s_or_b64 exec, exec, s[0:1]
	v_add_u32_e32 v19, 6, v37
	global_store_byte v19, v18, s[2:3]
	v_mul_f32_e32 v18, v21, v1
	v_mul_f32_e32 v18, v18, v25
	;; [unrolled: 1-line block ×3, first 2 shown]
	v_min_f32_e32 v18, 0x43600000, v18
	v_max_f32_e32 v20, 0xc3600000, v18
	v_and_b32_e32 v34, 0x7f800000, v20
	v_or_b32_sdwa v18, v20, s24 dst_sel:DWORD dst_unused:UNUSED_PAD src0_sel:BYTE_3 src1_sel:DWORD
	v_cmp_ne_u64_e32 vcc, s[6:7], v[34:35]
	s_and_saveexec_b64 s[0:1], vcc
	s_xor_b64 s[12:13], exec, s[0:1]
	s_cbranch_execz .LBB5_112
; %bb.103:                              ;   in Loop: Header=BB5_32 Depth=1
	v_and_b32_e32 v34, 0x7fffffff, v20
	v_cmp_gt_u64_e32 vcc, s[10:11], v[34:35]
	s_and_saveexec_b64 s[0:1], vcc
	s_xor_b64 s[14:15], exec, s[0:1]
	s_cbranch_execz .LBB5_111
; %bb.104:                              ;   in Loop: Header=BB5_32 Depth=1
	v_cmp_ne_u32_e32 vcc, 0, v20
	v_mov_b32_e32 v18, 0
	s_and_saveexec_b64 s[16:17], vcc
	s_cbranch_execz .LBB5_110
; %bb.105:                              ;   in Loop: Header=BB5_32 Depth=1
	v_bfe_u32 v19, v20, 23, 8
	v_and_b32_e32 v18, 0x7fffff, v20
	v_sub_u32_e64 v21, s25, v19 clamp
	v_cmp_eq_u32_e32 vcc, 0, v19
	v_or_b32_e32 v22, 0x800000, v18
	v_cndmask_b32_e32 v21, v21, v41, vcc
	v_cndmask_b32_e32 v34, v22, v18, vcc
	v_add_u32_e32 v18, 20, v21
	v_add_u32_e32 v24, 0xffffff89, v19
	v_lshlrev_b64 v[18:19], v18, -1
	v_not_b32_e32 v18, v18
	v_add_u32_e32 v22, 19, v21
	v_and_b32_e32 v18, v34, v18
	v_mov_b32_e32 v19, v35
	v_lshlrev_b64 v[22:23], v22, 1
	v_cmp_eq_u64_e64 s[0:1], v[18:19], v[22:23]
	v_lshrrev_b64 v[18:19], v21, v[34:35]
	v_and_b32_e32 v34, 0x100000, v18
	v_cndmask_b32_e32 v22, v24, v42, vcc
	v_cmp_eq_u64_e32 vcc, 0, v[34:35]
	v_lshrrev_b32_e32 v23, 23, v18
	s_and_b64 vcc, vcc, s[0:1]
	v_add3_u32 v22, v22, v21, v23
	v_subbrev_co_u32_e32 v21, vcc, 0, v18, vcc
	v_and_b32_e32 v21, 0xfffff, v21
	v_add_co_u32_e32 v18, vcc, v21, v18
	v_add_u32_e32 v23, -1, v22
	v_addc_co_u32_e32 v19, vcc, 0, v19, vcc
	v_cmp_ne_u32_e32 vcc, 0, v23
                                        ; implicit-def: $vgpr21
	s_and_saveexec_b64 s[0:1], vcc
	s_xor_b64 s[0:1], exec, s[0:1]
; %bb.106:                              ;   in Loop: Header=BB5_32 Depth=1
	v_and_b32_e32 v34, 0x1000000, v18
	v_cmp_eq_u64_e32 vcc, 0, v[34:35]
	v_cndmask_b32_e32 v21, v22, v23, vcc
	v_bfe_u32 v22, v18, 24, 1
	v_lshrrev_b64 v[18:19], v22, v[18:19]
; %bb.107:                              ;   in Loop: Header=BB5_32 Depth=1
	s_andn2_saveexec_b64 s[0:1], s[0:1]
; %bb.108:                              ;   in Loop: Header=BB5_32 Depth=1
	v_bfe_u32 v21, v18, 23, 1
; %bb.109:                              ;   in Loop: Header=BB5_32 Depth=1
	s_or_b64 exec, exec, s[0:1]
	v_lshrrev_b64 v[18:19], 20, v[18:19]
	v_cmp_gt_i32_e32 vcc, 16, v21
	v_and_b32_sdwa v20, v20, s26 dst_sel:DWORD dst_unused:UNUSED_PAD src0_sel:BYTE_3 src1_sel:DWORD
	v_min_i32_e32 v22, 15, v21
	v_cndmask_b32_e32 v19, 0, v19, vcc
	v_cndmask_b32_e32 v18, 7, v18, vcc
	v_cmp_eq_u32_e32 vcc, 0, v21
	v_cmp_eq_u64_e64 s[0:1], 0, v[18:19]
	v_lshl_or_b32 v19, v22, 3, v20
	v_and_or_b32 v18, v18, 7, v19
	s_and_b64 s[0:1], vcc, s[0:1]
	v_cndmask_b32_e64 v18, v18, 0, s[0:1]
.LBB5_110:                              ;   in Loop: Header=BB5_32 Depth=1
	s_or_b64 exec, exec, s[16:17]
.LBB5_111:                              ;   in Loop: Header=BB5_32 Depth=1
	s_andn2_saveexec_b64 s[0:1], s[14:15]
	s_or_b64 exec, exec, s[0:1]
.LBB5_112:                              ;   in Loop: Header=BB5_32 Depth=1
	s_andn2_saveexec_b64 s[0:1], s[12:13]
	s_or_b64 exec, exec, s[0:1]
	s_waitcnt vmcnt(9)
	v_mul_f32_e32 v10, v10, v1
	s_waitcnt vmcnt(7)
	v_mul_f32_e32 v10, v10, v14
	v_mul_f32_e32 v10, v40, v10
	v_min_f32_e32 v10, 0x43600000, v10
	v_max_f32_e32 v10, 0xc3600000, v10
	v_and_b32_e32 v34, 0x7f800000, v10
	v_add_u32_e32 v19, 7, v37
	v_or_b32_sdwa v14, v10, s24 dst_sel:DWORD dst_unused:UNUSED_PAD src0_sel:BYTE_3 src1_sel:DWORD
	v_cmp_ne_u64_e32 vcc, s[6:7], v[34:35]
	global_store_byte v19, v18, s[2:3]
	s_and_saveexec_b64 s[0:1], vcc
	s_xor_b64 s[12:13], exec, s[0:1]
	s_cbranch_execz .LBB5_122
; %bb.113:                              ;   in Loop: Header=BB5_32 Depth=1
	v_and_b32_e32 v34, 0x7fffffff, v10
	v_cmp_gt_u64_e32 vcc, s[10:11], v[34:35]
	s_and_saveexec_b64 s[0:1], vcc
	s_xor_b64 s[14:15], exec, s[0:1]
	s_cbranch_execz .LBB5_121
; %bb.114:                              ;   in Loop: Header=BB5_32 Depth=1
	v_cmp_ne_u32_e32 vcc, 0, v10
	v_mov_b32_e32 v14, 0
	s_and_saveexec_b64 s[16:17], vcc
	s_cbranch_execz .LBB5_120
; %bb.115:                              ;   in Loop: Header=BB5_32 Depth=1
	v_bfe_u32 v18, v10, 23, 8
	v_and_b32_e32 v14, 0x7fffff, v10
	v_sub_u32_e64 v19, s25, v18 clamp
	v_cmp_eq_u32_e32 vcc, 0, v18
	v_or_b32_e32 v20, 0x800000, v14
	v_cndmask_b32_e32 v23, v19, v41, vcc
	v_cndmask_b32_e32 v34, v20, v14, vcc
	v_add_u32_e32 v14, 20, v23
	v_add_u32_e32 v22, 0xffffff89, v18
	v_lshlrev_b64 v[18:19], v14, -1
	v_not_b32_e32 v14, v18
	v_and_b32_e32 v18, v34, v14
	v_add_u32_e32 v14, 19, v23
	v_mov_b32_e32 v19, v35
	v_lshlrev_b64 v[20:21], v14, 1
	v_cmp_eq_u64_e64 s[0:1], v[18:19], v[20:21]
	v_lshrrev_b64 v[18:19], v23, v[34:35]
	v_and_b32_e32 v34, 0x100000, v18
	v_cndmask_b32_e32 v14, v22, v42, vcc
	v_cmp_eq_u64_e32 vcc, 0, v[34:35]
	v_lshrrev_b32_e32 v20, 23, v18
	s_and_b64 vcc, vcc, s[0:1]
	v_add3_u32 v20, v14, v23, v20
	v_subbrev_co_u32_e32 v14, vcc, 0, v18, vcc
	v_and_b32_e32 v14, 0xfffff, v14
	v_add_co_u32_e32 v18, vcc, v14, v18
	v_add_u32_e32 v21, -1, v20
	v_addc_co_u32_e32 v19, vcc, 0, v19, vcc
	v_cmp_ne_u32_e32 vcc, 0, v21
                                        ; implicit-def: $vgpr14
	s_and_saveexec_b64 s[0:1], vcc
	s_xor_b64 s[0:1], exec, s[0:1]
; %bb.116:                              ;   in Loop: Header=BB5_32 Depth=1
	v_and_b32_e32 v34, 0x1000000, v18
	v_cmp_eq_u64_e32 vcc, 0, v[34:35]
	v_cndmask_b32_e32 v14, v20, v21, vcc
	v_bfe_u32 v20, v18, 24, 1
	v_lshrrev_b64 v[18:19], v20, v[18:19]
; %bb.117:                              ;   in Loop: Header=BB5_32 Depth=1
	s_andn2_saveexec_b64 s[0:1], s[0:1]
; %bb.118:                              ;   in Loop: Header=BB5_32 Depth=1
	v_bfe_u32 v14, v18, 23, 1
; %bb.119:                              ;   in Loop: Header=BB5_32 Depth=1
	s_or_b64 exec, exec, s[0:1]
	v_lshrrev_b64 v[18:19], 20, v[18:19]
	v_cmp_gt_i32_e32 vcc, 16, v14
	v_and_b32_sdwa v10, v10, s26 dst_sel:DWORD dst_unused:UNUSED_PAD src0_sel:BYTE_3 src1_sel:DWORD
	v_min_i32_e32 v20, 15, v14
	v_cndmask_b32_e32 v19, 0, v19, vcc
	v_cndmask_b32_e32 v18, 7, v18, vcc
	v_cmp_eq_u32_e32 vcc, 0, v14
	v_cmp_eq_u64_e64 s[0:1], 0, v[18:19]
	v_lshl_or_b32 v10, v20, 3, v10
	v_and_or_b32 v10, v18, 7, v10
	s_and_b64 s[0:1], vcc, s[0:1]
	v_cndmask_b32_e64 v14, v10, 0, s[0:1]
.LBB5_120:                              ;   in Loop: Header=BB5_32 Depth=1
	s_or_b64 exec, exec, s[16:17]
.LBB5_121:                              ;   in Loop: Header=BB5_32 Depth=1
	s_andn2_saveexec_b64 s[0:1], s[14:15]
	s_or_b64 exec, exec, s[0:1]
.LBB5_122:                              ;   in Loop: Header=BB5_32 Depth=1
	s_andn2_saveexec_b64 s[0:1], s[12:13]
	s_or_b64 exec, exec, s[0:1]
	v_add_u32_e32 v10, 8, v37
	global_store_byte v10, v14, s[2:3]
	v_mul_f32_e32 v10, v11, v1
	v_mul_f32_e32 v10, v10, v15
	;; [unrolled: 1-line block ×3, first 2 shown]
	v_min_f32_e32 v10, 0x43600000, v10
	v_max_f32_e32 v14, 0xc3600000, v10
	v_and_b32_e32 v34, 0x7f800000, v14
	v_or_b32_sdwa v10, v14, s24 dst_sel:DWORD dst_unused:UNUSED_PAD src0_sel:BYTE_3 src1_sel:DWORD
	v_cmp_ne_u64_e32 vcc, s[6:7], v[34:35]
	s_and_saveexec_b64 s[0:1], vcc
	s_xor_b64 s[12:13], exec, s[0:1]
	s_cbranch_execz .LBB5_132
; %bb.123:                              ;   in Loop: Header=BB5_32 Depth=1
	v_and_b32_e32 v34, 0x7fffffff, v14
	v_cmp_gt_u64_e32 vcc, s[10:11], v[34:35]
	s_and_saveexec_b64 s[0:1], vcc
	s_xor_b64 s[14:15], exec, s[0:1]
	s_cbranch_execz .LBB5_131
; %bb.124:                              ;   in Loop: Header=BB5_32 Depth=1
	v_cmp_ne_u32_e32 vcc, 0, v14
	v_mov_b32_e32 v10, 0
	s_and_saveexec_b64 s[16:17], vcc
	s_cbranch_execz .LBB5_130
; %bb.125:                              ;   in Loop: Header=BB5_32 Depth=1
	v_bfe_u32 v11, v14, 23, 8
	v_and_b32_e32 v10, 0x7fffff, v14
	v_sub_u32_e64 v15, s25, v11 clamp
	v_cmp_eq_u32_e32 vcc, 0, v11
	v_or_b32_e32 v18, 0x800000, v10
	v_cndmask_b32_e32 v15, v15, v41, vcc
	v_cndmask_b32_e32 v34, v18, v10, vcc
	v_add_u32_e32 v10, 20, v15
	v_add_u32_e32 v20, 0xffffff89, v11
	v_lshlrev_b64 v[10:11], v10, -1
	v_not_b32_e32 v10, v10
	v_add_u32_e32 v18, 19, v15
	v_and_b32_e32 v10, v34, v10
	v_mov_b32_e32 v11, v35
	v_lshlrev_b64 v[18:19], v18, 1
	v_cmp_eq_u64_e64 s[0:1], v[10:11], v[18:19]
	v_lshrrev_b64 v[10:11], v15, v[34:35]
	v_and_b32_e32 v34, 0x100000, v10
	v_cndmask_b32_e32 v18, v20, v42, vcc
	v_cmp_eq_u64_e32 vcc, 0, v[34:35]
	v_lshrrev_b32_e32 v19, 23, v10
	s_and_b64 vcc, vcc, s[0:1]
	v_add3_u32 v18, v18, v15, v19
	v_subbrev_co_u32_e32 v15, vcc, 0, v10, vcc
	v_and_b32_e32 v15, 0xfffff, v15
	v_add_co_u32_e32 v10, vcc, v15, v10
	v_add_u32_e32 v19, -1, v18
	v_addc_co_u32_e32 v11, vcc, 0, v11, vcc
	v_cmp_ne_u32_e32 vcc, 0, v19
                                        ; implicit-def: $vgpr15
	s_and_saveexec_b64 s[0:1], vcc
	s_xor_b64 s[0:1], exec, s[0:1]
; %bb.126:                              ;   in Loop: Header=BB5_32 Depth=1
	v_and_b32_e32 v34, 0x1000000, v10
	v_cmp_eq_u64_e32 vcc, 0, v[34:35]
	v_cndmask_b32_e32 v15, v18, v19, vcc
	v_bfe_u32 v18, v10, 24, 1
	v_lshrrev_b64 v[10:11], v18, v[10:11]
; %bb.127:                              ;   in Loop: Header=BB5_32 Depth=1
	s_andn2_saveexec_b64 s[0:1], s[0:1]
; %bb.128:                              ;   in Loop: Header=BB5_32 Depth=1
	v_bfe_u32 v15, v10, 23, 1
; %bb.129:                              ;   in Loop: Header=BB5_32 Depth=1
	s_or_b64 exec, exec, s[0:1]
	v_lshrrev_b64 v[10:11], 20, v[10:11]
	v_cmp_gt_i32_e32 vcc, 16, v15
	v_and_b32_sdwa v14, v14, s26 dst_sel:DWORD dst_unused:UNUSED_PAD src0_sel:BYTE_3 src1_sel:DWORD
	v_min_i32_e32 v18, 15, v15
	v_cndmask_b32_e32 v11, 0, v11, vcc
	v_cndmask_b32_e32 v10, 7, v10, vcc
	v_cmp_eq_u32_e32 vcc, 0, v15
	v_cmp_eq_u64_e64 s[0:1], 0, v[10:11]
	v_lshl_or_b32 v11, v18, 3, v14
	v_and_or_b32 v10, v10, 7, v11
	s_and_b64 s[0:1], vcc, s[0:1]
	v_cndmask_b32_e64 v10, v10, 0, s[0:1]
.LBB5_130:                              ;   in Loop: Header=BB5_32 Depth=1
	s_or_b64 exec, exec, s[16:17]
.LBB5_131:                              ;   in Loop: Header=BB5_32 Depth=1
	s_andn2_saveexec_b64 s[0:1], s[14:15]
	s_or_b64 exec, exec, s[0:1]
.LBB5_132:                              ;   in Loop: Header=BB5_32 Depth=1
	s_andn2_saveexec_b64 s[0:1], s[12:13]
	s_or_b64 exec, exec, s[0:1]
	v_add_u32_e32 v11, 9, v37
	global_store_byte v11, v10, s[2:3]
	v_mul_f32_e32 v10, v12, v1
	v_mul_f32_e32 v10, v10, v16
	;; [unrolled: 1-line block ×3, first 2 shown]
	v_min_f32_e32 v10, 0x43600000, v10
	v_max_f32_e32 v12, 0xc3600000, v10
	v_and_b32_e32 v34, 0x7f800000, v12
	v_or_b32_sdwa v10, v12, s24 dst_sel:DWORD dst_unused:UNUSED_PAD src0_sel:BYTE_3 src1_sel:DWORD
	v_cmp_ne_u64_e32 vcc, s[6:7], v[34:35]
	s_and_saveexec_b64 s[0:1], vcc
	s_xor_b64 s[12:13], exec, s[0:1]
	s_cbranch_execz .LBB5_142
; %bb.133:                              ;   in Loop: Header=BB5_32 Depth=1
	v_and_b32_e32 v34, 0x7fffffff, v12
	v_cmp_gt_u64_e32 vcc, s[10:11], v[34:35]
	s_and_saveexec_b64 s[0:1], vcc
	s_xor_b64 s[14:15], exec, s[0:1]
	s_cbranch_execz .LBB5_141
; %bb.134:                              ;   in Loop: Header=BB5_32 Depth=1
	v_cmp_ne_u32_e32 vcc, 0, v12
	v_mov_b32_e32 v10, 0
	s_and_saveexec_b64 s[16:17], vcc
	s_cbranch_execz .LBB5_140
; %bb.135:                              ;   in Loop: Header=BB5_32 Depth=1
	v_bfe_u32 v11, v12, 23, 8
	v_and_b32_e32 v10, 0x7fffff, v12
	v_sub_u32_e64 v14, s25, v11 clamp
	v_cmp_eq_u32_e32 vcc, 0, v11
	v_or_b32_e32 v15, 0x800000, v10
	v_cndmask_b32_e32 v18, v14, v41, vcc
	v_cndmask_b32_e32 v34, v15, v10, vcc
	v_add_u32_e32 v10, 20, v18
	v_add_u32_e32 v16, 0xffffff89, v11
	v_lshlrev_b64 v[10:11], v10, -1
	v_not_b32_e32 v10, v10
	v_add_u32_e32 v14, 19, v18
	v_and_b32_e32 v10, v34, v10
	v_mov_b32_e32 v11, v35
	v_lshlrev_b64 v[14:15], v14, 1
	v_cmp_eq_u64_e64 s[0:1], v[10:11], v[14:15]
	v_lshrrev_b64 v[10:11], v18, v[34:35]
	v_and_b32_e32 v34, 0x100000, v10
	v_cndmask_b32_e32 v14, v16, v42, vcc
	v_cmp_eq_u64_e32 vcc, 0, v[34:35]
	v_lshrrev_b32_e32 v15, 23, v10
	s_and_b64 vcc, vcc, s[0:1]
	v_add3_u32 v15, v14, v18, v15
	v_subbrev_co_u32_e32 v14, vcc, 0, v10, vcc
	v_and_b32_e32 v14, 0xfffff, v14
	v_add_co_u32_e32 v10, vcc, v14, v10
	v_add_u32_e32 v16, -1, v15
	v_addc_co_u32_e32 v11, vcc, 0, v11, vcc
	v_cmp_ne_u32_e32 vcc, 0, v16
                                        ; implicit-def: $vgpr14
	s_and_saveexec_b64 s[0:1], vcc
	s_xor_b64 s[0:1], exec, s[0:1]
; %bb.136:                              ;   in Loop: Header=BB5_32 Depth=1
	v_and_b32_e32 v34, 0x1000000, v10
	v_cmp_eq_u64_e32 vcc, 0, v[34:35]
	v_cndmask_b32_e32 v14, v15, v16, vcc
	v_bfe_u32 v15, v10, 24, 1
	v_lshrrev_b64 v[10:11], v15, v[10:11]
; %bb.137:                              ;   in Loop: Header=BB5_32 Depth=1
	s_andn2_saveexec_b64 s[0:1], s[0:1]
; %bb.138:                              ;   in Loop: Header=BB5_32 Depth=1
	v_bfe_u32 v14, v10, 23, 1
; %bb.139:                              ;   in Loop: Header=BB5_32 Depth=1
	s_or_b64 exec, exec, s[0:1]
	v_lshrrev_b64 v[10:11], 20, v[10:11]
	v_cmp_gt_i32_e32 vcc, 16, v14
	v_and_b32_sdwa v12, v12, s26 dst_sel:DWORD dst_unused:UNUSED_PAD src0_sel:BYTE_3 src1_sel:DWORD
	v_min_i32_e32 v15, 15, v14
	v_cndmask_b32_e32 v11, 0, v11, vcc
	v_cndmask_b32_e32 v10, 7, v10, vcc
	v_cmp_eq_u32_e32 vcc, 0, v14
	v_cmp_eq_u64_e64 s[0:1], 0, v[10:11]
	v_lshl_or_b32 v11, v15, 3, v12
	v_and_or_b32 v10, v10, 7, v11
	s_and_b64 s[0:1], vcc, s[0:1]
	v_cndmask_b32_e64 v10, v10, 0, s[0:1]
.LBB5_140:                              ;   in Loop: Header=BB5_32 Depth=1
	s_or_b64 exec, exec, s[16:17]
.LBB5_141:                              ;   in Loop: Header=BB5_32 Depth=1
	s_andn2_saveexec_b64 s[0:1], s[14:15]
	s_or_b64 exec, exec, s[0:1]
.LBB5_142:                              ;   in Loop: Header=BB5_32 Depth=1
	s_andn2_saveexec_b64 s[0:1], s[12:13]
	s_or_b64 exec, exec, s[0:1]
	v_add_u32_e32 v11, 10, v37
	global_store_byte v11, v10, s[2:3]
	v_mul_f32_e32 v10, v13, v1
	v_mul_f32_e32 v10, v10, v17
	;; [unrolled: 1-line block ×3, first 2 shown]
	v_min_f32_e32 v10, 0x43600000, v10
	v_max_f32_e32 v12, 0xc3600000, v10
	v_and_b32_e32 v34, 0x7f800000, v12
	v_or_b32_sdwa v10, v12, s24 dst_sel:DWORD dst_unused:UNUSED_PAD src0_sel:BYTE_3 src1_sel:DWORD
	v_cmp_ne_u64_e32 vcc, s[6:7], v[34:35]
	s_and_saveexec_b64 s[0:1], vcc
	s_xor_b64 s[12:13], exec, s[0:1]
	s_cbranch_execz .LBB5_152
; %bb.143:                              ;   in Loop: Header=BB5_32 Depth=1
	v_and_b32_e32 v34, 0x7fffffff, v12
	v_cmp_gt_u64_e32 vcc, s[10:11], v[34:35]
	s_and_saveexec_b64 s[0:1], vcc
	s_xor_b64 s[14:15], exec, s[0:1]
	s_cbranch_execz .LBB5_151
; %bb.144:                              ;   in Loop: Header=BB5_32 Depth=1
	v_cmp_ne_u32_e32 vcc, 0, v12
	v_mov_b32_e32 v10, 0
	s_and_saveexec_b64 s[16:17], vcc
	s_cbranch_execz .LBB5_150
; %bb.145:                              ;   in Loop: Header=BB5_32 Depth=1
	v_bfe_u32 v11, v12, 23, 8
	v_and_b32_e32 v10, 0x7fffff, v12
	v_sub_u32_e64 v13, s25, v11 clamp
	v_cmp_eq_u32_e32 vcc, 0, v11
	v_or_b32_e32 v14, 0x800000, v10
	v_cndmask_b32_e32 v13, v13, v41, vcc
	v_cndmask_b32_e32 v34, v14, v10, vcc
	v_add_u32_e32 v10, 20, v13
	v_add_u32_e32 v16, 0xffffff89, v11
	v_lshlrev_b64 v[10:11], v10, -1
	v_not_b32_e32 v10, v10
	v_add_u32_e32 v14, 19, v13
	v_and_b32_e32 v10, v34, v10
	v_mov_b32_e32 v11, v35
	v_lshlrev_b64 v[14:15], v14, 1
	v_cmp_eq_u64_e64 s[0:1], v[10:11], v[14:15]
	v_lshrrev_b64 v[10:11], v13, v[34:35]
	v_and_b32_e32 v34, 0x100000, v10
	v_cndmask_b32_e32 v14, v16, v42, vcc
	v_cmp_eq_u64_e32 vcc, 0, v[34:35]
	v_lshrrev_b32_e32 v15, 23, v10
	s_and_b64 vcc, vcc, s[0:1]
	v_add3_u32 v14, v14, v13, v15
	v_subbrev_co_u32_e32 v13, vcc, 0, v10, vcc
	v_and_b32_e32 v13, 0xfffff, v13
	v_add_co_u32_e32 v10, vcc, v13, v10
	v_add_u32_e32 v15, -1, v14
	v_addc_co_u32_e32 v11, vcc, 0, v11, vcc
	v_cmp_ne_u32_e32 vcc, 0, v15
                                        ; implicit-def: $vgpr13
	s_and_saveexec_b64 s[0:1], vcc
	s_xor_b64 s[0:1], exec, s[0:1]
; %bb.146:                              ;   in Loop: Header=BB5_32 Depth=1
	v_and_b32_e32 v34, 0x1000000, v10
	v_cmp_eq_u64_e32 vcc, 0, v[34:35]
	v_cndmask_b32_e32 v13, v14, v15, vcc
	v_bfe_u32 v14, v10, 24, 1
	v_lshrrev_b64 v[10:11], v14, v[10:11]
; %bb.147:                              ;   in Loop: Header=BB5_32 Depth=1
	s_andn2_saveexec_b64 s[0:1], s[0:1]
; %bb.148:                              ;   in Loop: Header=BB5_32 Depth=1
	v_bfe_u32 v13, v10, 23, 1
; %bb.149:                              ;   in Loop: Header=BB5_32 Depth=1
	s_or_b64 exec, exec, s[0:1]
	v_lshrrev_b64 v[10:11], 20, v[10:11]
	v_cmp_gt_i32_e32 vcc, 16, v13
	v_and_b32_sdwa v12, v12, s26 dst_sel:DWORD dst_unused:UNUSED_PAD src0_sel:BYTE_3 src1_sel:DWORD
	v_min_i32_e32 v14, 15, v13
	v_cndmask_b32_e32 v11, 0, v11, vcc
	v_cndmask_b32_e32 v10, 7, v10, vcc
	v_cmp_eq_u32_e32 vcc, 0, v13
	v_cmp_eq_u64_e64 s[0:1], 0, v[10:11]
	v_lshl_or_b32 v11, v14, 3, v12
	v_and_or_b32 v10, v10, 7, v11
	s_and_b64 s[0:1], vcc, s[0:1]
	v_cndmask_b32_e64 v10, v10, 0, s[0:1]
.LBB5_150:                              ;   in Loop: Header=BB5_32 Depth=1
	s_or_b64 exec, exec, s[16:17]
.LBB5_151:                              ;   in Loop: Header=BB5_32 Depth=1
	s_andn2_saveexec_b64 s[0:1], s[14:15]
	s_or_b64 exec, exec, s[0:1]
.LBB5_152:                              ;   in Loop: Header=BB5_32 Depth=1
	s_andn2_saveexec_b64 s[0:1], s[12:13]
	s_or_b64 exec, exec, s[0:1]
	v_mul_f32_e32 v2, v2, v1
	v_mul_f32_e32 v2, v2, v6
	;; [unrolled: 1-line block ×3, first 2 shown]
	v_min_f32_e32 v2, 0x43600000, v2
	v_max_f32_e32 v2, 0xc3600000, v2
	v_and_b32_e32 v34, 0x7f800000, v2
	v_add_u32_e32 v11, 11, v37
	v_or_b32_sdwa v6, v2, s24 dst_sel:DWORD dst_unused:UNUSED_PAD src0_sel:BYTE_3 src1_sel:DWORD
	v_cmp_ne_u64_e32 vcc, s[6:7], v[34:35]
	global_store_byte v11, v10, s[2:3]
	s_and_saveexec_b64 s[0:1], vcc
	s_xor_b64 s[12:13], exec, s[0:1]
	s_cbranch_execz .LBB5_162
; %bb.153:                              ;   in Loop: Header=BB5_32 Depth=1
	v_and_b32_e32 v34, 0x7fffffff, v2
	v_cmp_gt_u64_e32 vcc, s[10:11], v[34:35]
	s_and_saveexec_b64 s[0:1], vcc
	s_xor_b64 s[14:15], exec, s[0:1]
	s_cbranch_execz .LBB5_161
; %bb.154:                              ;   in Loop: Header=BB5_32 Depth=1
	v_cmp_ne_u32_e32 vcc, 0, v2
	v_mov_b32_e32 v6, 0
	s_and_saveexec_b64 s[16:17], vcc
	s_cbranch_execz .LBB5_160
; %bb.155:                              ;   in Loop: Header=BB5_32 Depth=1
	v_bfe_u32 v10, v2, 23, 8
	v_and_b32_e32 v6, 0x7fffff, v2
	v_sub_u32_e64 v11, s25, v10 clamp
	v_cmp_eq_u32_e32 vcc, 0, v10
	v_or_b32_e32 v12, 0x800000, v6
	v_cndmask_b32_e32 v15, v11, v41, vcc
	v_cndmask_b32_e32 v34, v12, v6, vcc
	v_add_u32_e32 v6, 20, v15
	v_add_u32_e32 v14, 0xffffff89, v10
	v_lshlrev_b64 v[10:11], v6, -1
	v_not_b32_e32 v6, v10
	v_and_b32_e32 v10, v34, v6
	v_add_u32_e32 v6, 19, v15
	v_mov_b32_e32 v11, v35
	v_lshlrev_b64 v[12:13], v6, 1
	v_cmp_eq_u64_e64 s[0:1], v[10:11], v[12:13]
	v_lshrrev_b64 v[10:11], v15, v[34:35]
	v_and_b32_e32 v34, 0x100000, v10
	v_cndmask_b32_e32 v6, v14, v42, vcc
	v_cmp_eq_u64_e32 vcc, 0, v[34:35]
	v_lshrrev_b32_e32 v12, 23, v10
	s_and_b64 vcc, vcc, s[0:1]
	v_add3_u32 v12, v6, v15, v12
	v_subbrev_co_u32_e32 v6, vcc, 0, v10, vcc
	v_and_b32_e32 v6, 0xfffff, v6
	v_add_co_u32_e32 v10, vcc, v6, v10
	v_add_u32_e32 v13, -1, v12
	v_addc_co_u32_e32 v11, vcc, 0, v11, vcc
	v_cmp_ne_u32_e32 vcc, 0, v13
                                        ; implicit-def: $vgpr6
	s_and_saveexec_b64 s[0:1], vcc
	s_xor_b64 s[0:1], exec, s[0:1]
; %bb.156:                              ;   in Loop: Header=BB5_32 Depth=1
	v_and_b32_e32 v34, 0x1000000, v10
	v_cmp_eq_u64_e32 vcc, 0, v[34:35]
	v_cndmask_b32_e32 v6, v12, v13, vcc
	v_bfe_u32 v12, v10, 24, 1
	v_lshrrev_b64 v[10:11], v12, v[10:11]
; %bb.157:                              ;   in Loop: Header=BB5_32 Depth=1
	s_andn2_saveexec_b64 s[0:1], s[0:1]
; %bb.158:                              ;   in Loop: Header=BB5_32 Depth=1
	v_bfe_u32 v6, v10, 23, 1
; %bb.159:                              ;   in Loop: Header=BB5_32 Depth=1
	s_or_b64 exec, exec, s[0:1]
	v_lshrrev_b64 v[10:11], 20, v[10:11]
	v_cmp_gt_i32_e32 vcc, 16, v6
	v_and_b32_sdwa v2, v2, s26 dst_sel:DWORD dst_unused:UNUSED_PAD src0_sel:BYTE_3 src1_sel:DWORD
	v_min_i32_e32 v12, 15, v6
	v_cndmask_b32_e32 v11, 0, v11, vcc
	v_cndmask_b32_e32 v10, 7, v10, vcc
	v_cmp_eq_u32_e32 vcc, 0, v6
	v_cmp_eq_u64_e64 s[0:1], 0, v[10:11]
	v_lshl_or_b32 v2, v12, 3, v2
	v_and_or_b32 v2, v10, 7, v2
	s_and_b64 s[0:1], vcc, s[0:1]
	v_cndmask_b32_e64 v6, v2, 0, s[0:1]
.LBB5_160:                              ;   in Loop: Header=BB5_32 Depth=1
	s_or_b64 exec, exec, s[16:17]
.LBB5_161:                              ;   in Loop: Header=BB5_32 Depth=1
	s_andn2_saveexec_b64 s[0:1], s[14:15]
	s_or_b64 exec, exec, s[0:1]
.LBB5_162:                              ;   in Loop: Header=BB5_32 Depth=1
	s_andn2_saveexec_b64 s[0:1], s[12:13]
	s_or_b64 exec, exec, s[0:1]
	v_add_u32_e32 v2, 12, v37
	global_store_byte v2, v6, s[2:3]
	v_mul_f32_e32 v2, v3, v1
	v_mul_f32_e32 v2, v2, v7
	;; [unrolled: 1-line block ×3, first 2 shown]
	v_min_f32_e32 v2, 0x43600000, v2
	v_max_f32_e32 v6, 0xc3600000, v2
	v_and_b32_e32 v34, 0x7f800000, v6
	v_or_b32_sdwa v2, v6, s24 dst_sel:DWORD dst_unused:UNUSED_PAD src0_sel:BYTE_3 src1_sel:DWORD
	v_cmp_ne_u64_e32 vcc, s[6:7], v[34:35]
	s_and_saveexec_b64 s[0:1], vcc
	s_xor_b64 s[12:13], exec, s[0:1]
	s_cbranch_execz .LBB5_172
; %bb.163:                              ;   in Loop: Header=BB5_32 Depth=1
	v_and_b32_e32 v34, 0x7fffffff, v6
	v_cmp_gt_u64_e32 vcc, s[10:11], v[34:35]
	s_and_saveexec_b64 s[0:1], vcc
	s_xor_b64 s[14:15], exec, s[0:1]
	s_cbranch_execz .LBB5_171
; %bb.164:                              ;   in Loop: Header=BB5_32 Depth=1
	v_cmp_ne_u32_e32 vcc, 0, v6
	v_mov_b32_e32 v2, 0
	s_and_saveexec_b64 s[16:17], vcc
	s_cbranch_execz .LBB5_170
; %bb.165:                              ;   in Loop: Header=BB5_32 Depth=1
	v_bfe_u32 v3, v6, 23, 8
	v_and_b32_e32 v2, 0x7fffff, v6
	v_sub_u32_e64 v7, s25, v3 clamp
	v_cmp_eq_u32_e32 vcc, 0, v3
	v_or_b32_e32 v10, 0x800000, v2
	v_cndmask_b32_e32 v7, v7, v41, vcc
	v_cndmask_b32_e32 v34, v10, v2, vcc
	v_add_u32_e32 v2, 20, v7
	v_add_u32_e32 v12, 0xffffff89, v3
	v_lshlrev_b64 v[2:3], v2, -1
	v_not_b32_e32 v2, v2
	v_add_u32_e32 v10, 19, v7
	v_and_b32_e32 v2, v34, v2
	v_mov_b32_e32 v3, v35
	v_lshlrev_b64 v[10:11], v10, 1
	v_cmp_eq_u64_e64 s[0:1], v[2:3], v[10:11]
	v_lshrrev_b64 v[2:3], v7, v[34:35]
	v_and_b32_e32 v34, 0x100000, v2
	v_cndmask_b32_e32 v10, v12, v42, vcc
	v_cmp_eq_u64_e32 vcc, 0, v[34:35]
	v_lshrrev_b32_e32 v11, 23, v2
	s_and_b64 vcc, vcc, s[0:1]
	v_add3_u32 v10, v10, v7, v11
	v_subbrev_co_u32_e32 v7, vcc, 0, v2, vcc
	v_and_b32_e32 v7, 0xfffff, v7
	v_add_co_u32_e32 v2, vcc, v7, v2
	v_add_u32_e32 v11, -1, v10
	v_addc_co_u32_e32 v3, vcc, 0, v3, vcc
	v_cmp_ne_u32_e32 vcc, 0, v11
                                        ; implicit-def: $vgpr7
	s_and_saveexec_b64 s[0:1], vcc
	s_xor_b64 s[0:1], exec, s[0:1]
; %bb.166:                              ;   in Loop: Header=BB5_32 Depth=1
	v_and_b32_e32 v34, 0x1000000, v2
	v_cmp_eq_u64_e32 vcc, 0, v[34:35]
	v_cndmask_b32_e32 v7, v10, v11, vcc
	v_bfe_u32 v10, v2, 24, 1
	v_lshrrev_b64 v[2:3], v10, v[2:3]
; %bb.167:                              ;   in Loop: Header=BB5_32 Depth=1
	s_andn2_saveexec_b64 s[0:1], s[0:1]
; %bb.168:                              ;   in Loop: Header=BB5_32 Depth=1
	v_bfe_u32 v7, v2, 23, 1
; %bb.169:                              ;   in Loop: Header=BB5_32 Depth=1
	s_or_b64 exec, exec, s[0:1]
	v_lshrrev_b64 v[2:3], 20, v[2:3]
	v_cmp_gt_i32_e32 vcc, 16, v7
	v_and_b32_sdwa v6, v6, s26 dst_sel:DWORD dst_unused:UNUSED_PAD src0_sel:BYTE_3 src1_sel:DWORD
	v_min_i32_e32 v10, 15, v7
	v_cndmask_b32_e32 v3, 0, v3, vcc
	v_cndmask_b32_e32 v2, 7, v2, vcc
	v_cmp_eq_u32_e32 vcc, 0, v7
	v_cmp_eq_u64_e64 s[0:1], 0, v[2:3]
	v_lshl_or_b32 v3, v10, 3, v6
	v_and_or_b32 v2, v2, 7, v3
	s_and_b64 s[0:1], vcc, s[0:1]
	v_cndmask_b32_e64 v2, v2, 0, s[0:1]
.LBB5_170:                              ;   in Loop: Header=BB5_32 Depth=1
	s_or_b64 exec, exec, s[16:17]
.LBB5_171:                              ;   in Loop: Header=BB5_32 Depth=1
	s_andn2_saveexec_b64 s[0:1], s[14:15]
	s_or_b64 exec, exec, s[0:1]
.LBB5_172:                              ;   in Loop: Header=BB5_32 Depth=1
	s_andn2_saveexec_b64 s[0:1], s[12:13]
	s_or_b64 exec, exec, s[0:1]
	v_add_u32_e32 v3, 13, v37
	global_store_byte v3, v2, s[2:3]
	v_mul_f32_e32 v2, v4, v1
	v_mul_f32_e32 v2, v2, v8
	;; [unrolled: 1-line block ×3, first 2 shown]
	v_min_f32_e32 v2, 0x43600000, v2
	v_max_f32_e32 v4, 0xc3600000, v2
	v_and_b32_e32 v34, 0x7f800000, v4
	v_or_b32_sdwa v2, v4, s24 dst_sel:DWORD dst_unused:UNUSED_PAD src0_sel:BYTE_3 src1_sel:DWORD
	v_cmp_ne_u64_e32 vcc, s[6:7], v[34:35]
	s_and_saveexec_b64 s[0:1], vcc
	s_xor_b64 s[12:13], exec, s[0:1]
	s_cbranch_execz .LBB5_182
; %bb.173:                              ;   in Loop: Header=BB5_32 Depth=1
	v_and_b32_e32 v34, 0x7fffffff, v4
	v_cmp_gt_u64_e32 vcc, s[10:11], v[34:35]
	s_and_saveexec_b64 s[0:1], vcc
	s_xor_b64 s[14:15], exec, s[0:1]
	s_cbranch_execz .LBB5_181
; %bb.174:                              ;   in Loop: Header=BB5_32 Depth=1
	v_cmp_ne_u32_e32 vcc, 0, v4
	v_mov_b32_e32 v2, 0
	s_and_saveexec_b64 s[16:17], vcc
	s_cbranch_execz .LBB5_180
; %bb.175:                              ;   in Loop: Header=BB5_32 Depth=1
	v_bfe_u32 v3, v4, 23, 8
	v_and_b32_e32 v2, 0x7fffff, v4
	v_sub_u32_e64 v6, s25, v3 clamp
	v_cmp_eq_u32_e32 vcc, 0, v3
	v_or_b32_e32 v7, 0x800000, v2
	v_cndmask_b32_e32 v10, v6, v41, vcc
	v_cndmask_b32_e32 v34, v7, v2, vcc
	v_add_u32_e32 v2, 20, v10
	v_add_u32_e32 v8, 0xffffff89, v3
	v_lshlrev_b64 v[2:3], v2, -1
	v_not_b32_e32 v2, v2
	v_add_u32_e32 v6, 19, v10
	v_and_b32_e32 v2, v34, v2
	v_mov_b32_e32 v3, v35
	v_lshlrev_b64 v[6:7], v6, 1
	v_cmp_eq_u64_e64 s[0:1], v[2:3], v[6:7]
	v_lshrrev_b64 v[2:3], v10, v[34:35]
	v_and_b32_e32 v34, 0x100000, v2
	v_cndmask_b32_e32 v6, v8, v42, vcc
	v_cmp_eq_u64_e32 vcc, 0, v[34:35]
	v_lshrrev_b32_e32 v7, 23, v2
	s_and_b64 vcc, vcc, s[0:1]
	v_add3_u32 v7, v6, v10, v7
	v_subbrev_co_u32_e32 v6, vcc, 0, v2, vcc
	v_and_b32_e32 v6, 0xfffff, v6
	v_add_co_u32_e32 v2, vcc, v6, v2
	v_add_u32_e32 v8, -1, v7
	v_addc_co_u32_e32 v3, vcc, 0, v3, vcc
	v_cmp_ne_u32_e32 vcc, 0, v8
                                        ; implicit-def: $vgpr6
	s_and_saveexec_b64 s[0:1], vcc
	s_xor_b64 s[0:1], exec, s[0:1]
; %bb.176:                              ;   in Loop: Header=BB5_32 Depth=1
	v_and_b32_e32 v34, 0x1000000, v2
	v_cmp_eq_u64_e32 vcc, 0, v[34:35]
	v_cndmask_b32_e32 v6, v7, v8, vcc
	v_bfe_u32 v7, v2, 24, 1
	v_lshrrev_b64 v[2:3], v7, v[2:3]
; %bb.177:                              ;   in Loop: Header=BB5_32 Depth=1
	s_andn2_saveexec_b64 s[0:1], s[0:1]
; %bb.178:                              ;   in Loop: Header=BB5_32 Depth=1
	v_bfe_u32 v6, v2, 23, 1
; %bb.179:                              ;   in Loop: Header=BB5_32 Depth=1
	s_or_b64 exec, exec, s[0:1]
	v_lshrrev_b64 v[2:3], 20, v[2:3]
	v_cmp_gt_i32_e32 vcc, 16, v6
	v_and_b32_sdwa v4, v4, s26 dst_sel:DWORD dst_unused:UNUSED_PAD src0_sel:BYTE_3 src1_sel:DWORD
	v_min_i32_e32 v7, 15, v6
	v_cndmask_b32_e32 v3, 0, v3, vcc
	v_cndmask_b32_e32 v2, 7, v2, vcc
	v_cmp_eq_u32_e32 vcc, 0, v6
	v_cmp_eq_u64_e64 s[0:1], 0, v[2:3]
	v_lshl_or_b32 v3, v7, 3, v4
	v_and_or_b32 v2, v2, 7, v3
	s_and_b64 s[0:1], vcc, s[0:1]
	v_cndmask_b32_e64 v2, v2, 0, s[0:1]
.LBB5_180:                              ;   in Loop: Header=BB5_32 Depth=1
	s_or_b64 exec, exec, s[16:17]
.LBB5_181:                              ;   in Loop: Header=BB5_32 Depth=1
	s_andn2_saveexec_b64 s[0:1], s[14:15]
	s_or_b64 exec, exec, s[0:1]
.LBB5_182:                              ;   in Loop: Header=BB5_32 Depth=1
	s_andn2_saveexec_b64 s[0:1], s[12:13]
	s_or_b64 exec, exec, s[0:1]
	v_add_u32_e32 v3, 14, v37
	global_store_byte v3, v2, s[2:3]
	v_mul_f32_e32 v2, v5, v1
	v_mul_f32_e32 v2, v2, v9
	;; [unrolled: 1-line block ×3, first 2 shown]
	v_min_f32_e32 v2, 0x43600000, v2
	v_max_f32_e32 v4, 0xc3600000, v2
	v_and_b32_e32 v34, 0x7f800000, v4
	v_or_b32_sdwa v2, v4, s24 dst_sel:DWORD dst_unused:UNUSED_PAD src0_sel:BYTE_3 src1_sel:DWORD
	v_cmp_ne_u64_e32 vcc, s[6:7], v[34:35]
	s_and_saveexec_b64 s[0:1], vcc
	s_xor_b64 s[12:13], exec, s[0:1]
	s_cbranch_execz .LBB5_31
; %bb.183:                              ;   in Loop: Header=BB5_32 Depth=1
	v_and_b32_e32 v34, 0x7fffffff, v4
	v_cmp_gt_u64_e32 vcc, s[10:11], v[34:35]
	s_and_saveexec_b64 s[0:1], vcc
	s_xor_b64 s[14:15], exec, s[0:1]
	s_cbranch_execz .LBB5_30
; %bb.184:                              ;   in Loop: Header=BB5_32 Depth=1
	v_cmp_ne_u32_e32 vcc, 0, v4
	v_mov_b32_e32 v2, 0
	s_and_saveexec_b64 s[16:17], vcc
	s_cbranch_execz .LBB5_29
; %bb.185:                              ;   in Loop: Header=BB5_32 Depth=1
	v_bfe_u32 v3, v4, 23, 8
	v_and_b32_e32 v2, 0x7fffff, v4
	v_sub_u32_e64 v5, s25, v3 clamp
	v_cmp_eq_u32_e32 vcc, 0, v3
	v_or_b32_e32 v6, 0x800000, v2
	v_cndmask_b32_e32 v5, v5, v41, vcc
	v_cndmask_b32_e32 v34, v6, v2, vcc
	v_add_u32_e32 v2, 20, v5
	v_add_u32_e32 v8, 0xffffff89, v3
	v_lshlrev_b64 v[2:3], v2, -1
	v_not_b32_e32 v2, v2
	v_add_u32_e32 v6, 19, v5
	v_and_b32_e32 v2, v34, v2
	v_mov_b32_e32 v3, v35
	v_lshlrev_b64 v[6:7], v6, 1
	v_cmp_eq_u64_e64 s[0:1], v[2:3], v[6:7]
	v_lshrrev_b64 v[2:3], v5, v[34:35]
	v_and_b32_e32 v34, 0x100000, v2
	v_cndmask_b32_e32 v6, v8, v42, vcc
	v_cmp_eq_u64_e32 vcc, 0, v[34:35]
	v_lshrrev_b32_e32 v7, 23, v2
	s_and_b64 vcc, vcc, s[0:1]
	v_add3_u32 v6, v6, v5, v7
	v_subbrev_co_u32_e32 v5, vcc, 0, v2, vcc
	v_and_b32_e32 v5, 0xfffff, v5
	v_add_co_u32_e32 v2, vcc, v5, v2
	v_add_u32_e32 v7, -1, v6
	v_addc_co_u32_e32 v3, vcc, 0, v3, vcc
	v_cmp_ne_u32_e32 vcc, 0, v7
                                        ; implicit-def: $vgpr5
	s_and_saveexec_b64 s[0:1], vcc
	s_xor_b64 s[0:1], exec, s[0:1]
; %bb.186:                              ;   in Loop: Header=BB5_32 Depth=1
	v_and_b32_e32 v34, 0x1000000, v2
	v_cmp_eq_u64_e32 vcc, 0, v[34:35]
	v_cndmask_b32_e32 v5, v6, v7, vcc
	v_bfe_u32 v6, v2, 24, 1
	v_lshrrev_b64 v[2:3], v6, v[2:3]
; %bb.187:                              ;   in Loop: Header=BB5_32 Depth=1
	s_andn2_saveexec_b64 s[0:1], s[0:1]
	s_cbranch_execz .LBB5_28
; %bb.188:                              ;   in Loop: Header=BB5_32 Depth=1
	v_bfe_u32 v5, v2, 23, 1
	s_branch .LBB5_28
.LBB5_189:
	s_endpgm
	.section	.rodata,"a",@progbits
	.p2align	6, 0x0
	.amdhsa_kernel _ZN4vllm32rms_norm_static_fp8_quant_kernelIfN3c1015Float8_e4m3fnuzELi16EEEvPT0_PKT_iS7_PKffii
		.amdhsa_group_segment_fixed_size 68
		.amdhsa_private_segment_fixed_size 0
		.amdhsa_kernarg_size 312
		.amdhsa_user_sgpr_count 6
		.amdhsa_user_sgpr_private_segment_buffer 1
		.amdhsa_user_sgpr_dispatch_ptr 0
		.amdhsa_user_sgpr_queue_ptr 0
		.amdhsa_user_sgpr_kernarg_segment_ptr 1
		.amdhsa_user_sgpr_dispatch_id 0
		.amdhsa_user_sgpr_flat_scratch_init 0
		.amdhsa_user_sgpr_kernarg_preload_length 0
		.amdhsa_user_sgpr_kernarg_preload_offset 0
		.amdhsa_user_sgpr_private_segment_size 0
		.amdhsa_uses_dynamic_stack 0
		.amdhsa_system_sgpr_private_segment_wavefront_offset 0
		.amdhsa_system_sgpr_workgroup_id_x 1
		.amdhsa_system_sgpr_workgroup_id_y 0
		.amdhsa_system_sgpr_workgroup_id_z 0
		.amdhsa_system_sgpr_workgroup_info 0
		.amdhsa_system_vgpr_workitem_id 0
		.amdhsa_next_free_vgpr 47
		.amdhsa_next_free_sgpr 27
		.amdhsa_accum_offset 48
		.amdhsa_reserve_vcc 1
		.amdhsa_reserve_flat_scratch 0
		.amdhsa_float_round_mode_32 0
		.amdhsa_float_round_mode_16_64 0
		.amdhsa_float_denorm_mode_32 3
		.amdhsa_float_denorm_mode_16_64 3
		.amdhsa_dx10_clamp 1
		.amdhsa_ieee_mode 1
		.amdhsa_fp16_overflow 0
		.amdhsa_tg_split 0
		.amdhsa_exception_fp_ieee_invalid_op 0
		.amdhsa_exception_fp_denorm_src 0
		.amdhsa_exception_fp_ieee_div_zero 0
		.amdhsa_exception_fp_ieee_overflow 0
		.amdhsa_exception_fp_ieee_underflow 0
		.amdhsa_exception_fp_ieee_inexact 0
		.amdhsa_exception_int_div_zero 0
	.end_amdhsa_kernel
	.section	.text._ZN4vllm32rms_norm_static_fp8_quant_kernelIfN3c1015Float8_e4m3fnuzELi16EEEvPT0_PKT_iS7_PKffii,"axG",@progbits,_ZN4vllm32rms_norm_static_fp8_quant_kernelIfN3c1015Float8_e4m3fnuzELi16EEEvPT0_PKT_iS7_PKffii,comdat
.Lfunc_end5:
	.size	_ZN4vllm32rms_norm_static_fp8_quant_kernelIfN3c1015Float8_e4m3fnuzELi16EEEvPT0_PKT_iS7_PKffii, .Lfunc_end5-_ZN4vllm32rms_norm_static_fp8_quant_kernelIfN3c1015Float8_e4m3fnuzELi16EEEvPT0_PKT_iS7_PKffii
                                        ; -- End function
	.section	.AMDGPU.csdata,"",@progbits
; Kernel info:
; codeLenInByte = 8816
; NumSgprs: 31
; NumVgprs: 47
; NumAgprs: 0
; TotalNumVgprs: 47
; ScratchSize: 0
; MemoryBound: 1
; FloatMode: 240
; IeeeMode: 1
; LDSByteSize: 68 bytes/workgroup (compile time only)
; SGPRBlocks: 3
; VGPRBlocks: 5
; NumSGPRsForWavesPerEU: 31
; NumVGPRsForWavesPerEU: 47
; AccumOffset: 48
; Occupancy: 8
; WaveLimiterHint : 0
; COMPUTE_PGM_RSRC2:SCRATCH_EN: 0
; COMPUTE_PGM_RSRC2:USER_SGPR: 6
; COMPUTE_PGM_RSRC2:TRAP_HANDLER: 0
; COMPUTE_PGM_RSRC2:TGID_X_EN: 1
; COMPUTE_PGM_RSRC2:TGID_Y_EN: 0
; COMPUTE_PGM_RSRC2:TGID_Z_EN: 0
; COMPUTE_PGM_RSRC2:TIDIG_COMP_CNT: 0
; COMPUTE_PGM_RSRC3_GFX90A:ACCUM_OFFSET: 11
; COMPUTE_PGM_RSRC3_GFX90A:TG_SPLIT: 0
	.section	.text._ZN4vllm32rms_norm_static_fp8_quant_kernelIfN3c1015Float8_e4m3fnuzELi8EEEvPT0_PKT_iS7_PKffii,"axG",@progbits,_ZN4vllm32rms_norm_static_fp8_quant_kernelIfN3c1015Float8_e4m3fnuzELi8EEEvPT0_PKT_iS7_PKffii,comdat
	.protected	_ZN4vllm32rms_norm_static_fp8_quant_kernelIfN3c1015Float8_e4m3fnuzELi8EEEvPT0_PKT_iS7_PKffii ; -- Begin function _ZN4vllm32rms_norm_static_fp8_quant_kernelIfN3c1015Float8_e4m3fnuzELi8EEEvPT0_PKT_iS7_PKffii
	.globl	_ZN4vllm32rms_norm_static_fp8_quant_kernelIfN3c1015Float8_e4m3fnuzELi8EEEvPT0_PKT_iS7_PKffii
	.p2align	8
	.type	_ZN4vllm32rms_norm_static_fp8_quant_kernelIfN3c1015Float8_e4m3fnuzELi8EEEvPT0_PKT_iS7_PKffii,@function
_ZN4vllm32rms_norm_static_fp8_quant_kernelIfN3c1015Float8_e4m3fnuzELi8EEEvPT0_PKT_iS7_PKffii: ; @_ZN4vllm32rms_norm_static_fp8_quant_kernelIfN3c1015Float8_e4m3fnuzELi8EEEvPT0_PKT_iS7_PKffii
; %bb.0:
	s_load_dword s2, s[4:5], 0x10
	s_load_dwordx2 s[0:1], s[4:5], 0x8
	s_load_dword s7, s[4:5], 0x30
	s_load_dword s10, s[4:5], 0x44
	s_mov_b32 s9, 0
	s_waitcnt lgkmcnt(0)
	s_mul_i32 s8, s6, s2
	s_lshl_b64 s[2:3], s[8:9], 2
	s_add_u32 s18, s0, s2
	s_addc_u32 s19, s1, s3
	s_and_b32 s20, s10, 0xffff
	s_and_b32 s8, s18, 31
	s_cmp_lg_u64 s[8:9], 0
	s_cselect_b64 s[8:9], -1, 0
	s_and_b32 s10, s7, 7
	s_cmp_lg_u32 s10, 0
	s_cselect_b64 s[10:11], -1, 0
	s_or_b64 s[8:9], s[8:9], s[10:11]
	s_and_b64 vcc, exec, s[8:9]
	s_cbranch_vccz .LBB6_14
; %bb.1:
	s_sub_i32 s8, 0, s18
	s_bfe_u32 s8, s8, 0x30002
	s_min_i32 s8, s8, s7
	v_cmp_gt_i32_e32 vcc, s8, v0
	v_mov_b32_e32 v1, 0
	s_and_saveexec_b64 s[10:11], vcc
	s_cbranch_execz .LBB6_5
; %bb.2:
	s_add_u32 s9, s0, s2
	v_lshlrev_b32_e32 v1, 2, v0
	s_addc_u32 s12, s1, s3
	s_mov_b32 s14, 0
	v_mov_b32_e32 v3, s12
	v_add_co_u32_e32 v2, vcc, s9, v1
	v_addc_co_u32_e32 v3, vcc, 0, v3, vcc
	s_lshl_b32 s9, s20, 2
	s_mov_b64 s[12:13], 0
	v_mov_b32_e32 v1, 0
	v_mov_b32_e32 v4, s14
	;; [unrolled: 1-line block ×3, first 2 shown]
.LBB6_3:                                ; =>This Inner Loop Header: Depth=1
	global_load_dword v6, v[2:3], off
	v_add_co_u32_e32 v2, vcc, s9, v2
	v_add_u32_e32 v5, s20, v5
	v_addc_co_u32_e32 v3, vcc, v3, v4, vcc
	v_cmp_le_i32_e32 vcc, s8, v5
	s_or_b64 s[12:13], vcc, s[12:13]
	s_waitcnt vmcnt(0)
	v_fmac_f32_e32 v1, v6, v6
	s_andn2_b64 exec, exec, s[12:13]
	s_cbranch_execnz .LBB6_3
; %bb.4:
	s_or_b64 exec, exec, s[12:13]
.LBB6_5:
	s_or_b64 exec, exec, s[10:11]
	s_sub_i32 s14, s7, s8
	s_ashr_i32 s10, s14, 31
	s_lshr_b32 s10, s10, 29
	s_add_i32 s10, s14, s10
	s_ashr_i32 s15, s10, 3
	s_ashr_i32 s9, s8, 31
	v_cmp_gt_i32_e32 vcc, s15, v0
	s_and_saveexec_b64 s[10:11], vcc
	s_cbranch_execz .LBB6_9
; %bb.6:
	s_lshl_b64 s[12:13], s[8:9], 2
	s_add_u32 s16, s0, s2
	s_addc_u32 s21, s1, s3
	s_add_u32 s12, s16, s12
	v_lshlrev_b32_e32 v2, 5, v0
	s_addc_u32 s13, s21, s13
	s_mov_b32 s17, 0
	v_mov_b32_e32 v3, s13
	v_add_co_u32_e32 v2, vcc, s12, v2
	v_addc_co_u32_e32 v3, vcc, 0, v3, vcc
	s_lshl_b32 s16, s20, 5
	s_mov_b64 s[12:13], 0
	v_mov_b32_e32 v4, s17
	v_mov_b32_e32 v5, v0
.LBB6_7:                                ; =>This Inner Loop Header: Depth=1
	global_load_dwordx4 v[6:9], v[2:3], off
	global_load_dwordx4 v[10:13], v[2:3], off offset:16
	v_add_co_u32_e32 v2, vcc, s16, v2
	v_add_u32_e32 v5, s20, v5
	v_addc_co_u32_e32 v3, vcc, v3, v4, vcc
	v_cmp_le_i32_e32 vcc, s15, v5
	s_or_b64 s[12:13], vcc, s[12:13]
	s_waitcnt vmcnt(1)
	v_fmac_f32_e32 v1, v6, v6
	v_fmac_f32_e32 v1, v7, v7
	;; [unrolled: 1-line block ×4, first 2 shown]
	s_waitcnt vmcnt(0)
	v_fmac_f32_e32 v1, v10, v10
	v_fmac_f32_e32 v1, v11, v11
	;; [unrolled: 1-line block ×4, first 2 shown]
	s_andn2_b64 exec, exec, s[12:13]
	s_cbranch_execnz .LBB6_7
; %bb.8:
	s_or_b64 exec, exec, s[12:13]
.LBB6_9:
	s_or_b64 exec, exec, s[10:11]
	v_lshl_add_u32 v2, s15, 3, v0
	v_cmp_gt_i32_e32 vcc, s14, v2
	s_and_saveexec_b64 s[10:11], vcc
	s_cbranch_execz .LBB6_13
; %bb.10:
	s_lshl_b64 s[8:9], s[8:9], 2
	s_add_u32 s12, s0, s2
	s_addc_u32 s13, s1, s3
	v_ashrrev_i32_e32 v3, 31, v2
	s_add_u32 s8, s12, s8
	v_lshlrev_b64 v[4:5], 2, v[2:3]
	s_addc_u32 s9, s13, s9
	v_mov_b32_e32 v3, s9
	v_add_co_u32_e32 v4, vcc, s8, v4
	s_mov_b32 s13, 0
	v_addc_co_u32_e32 v5, vcc, v3, v5, vcc
	s_lshl_b32 s12, s20, 2
	s_mov_b64 s[8:9], 0
	v_mov_b32_e32 v3, s13
.LBB6_11:                               ; =>This Inner Loop Header: Depth=1
	global_load_dword v6, v[4:5], off
	v_add_co_u32_e32 v4, vcc, s12, v4
	v_add_u32_e32 v2, s20, v2
	v_addc_co_u32_e32 v5, vcc, v5, v3, vcc
	v_cmp_le_i32_e32 vcc, s14, v2
	s_or_b64 s[8:9], vcc, s[8:9]
	s_waitcnt vmcnt(0)
	v_fmac_f32_e32 v1, v6, v6
	s_andn2_b64 exec, exec, s[8:9]
	s_cbranch_execnz .LBB6_11
; %bb.12:
	s_or_b64 exec, exec, s[8:9]
.LBB6_13:
	s_or_b64 exec, exec, s[10:11]
	s_branch .LBB6_20
.LBB6_14:
                                        ; implicit-def: $vgpr1
	s_cbranch_execz .LBB6_20
; %bb.15:
	s_ashr_i32 s10, s7, 3
	v_cmp_gt_i32_e32 vcc, s10, v0
	v_mov_b32_e32 v1, 0
	s_and_saveexec_b64 s[8:9], vcc
	s_cbranch_execz .LBB6_19
; %bb.16:
	s_add_u32 s0, s0, s2
	v_lshlrev_b32_e32 v1, 5, v0
	s_addc_u32 s1, s1, s3
	s_mov_b32 s11, 0
	v_mov_b32_e32 v3, s1
	v_add_co_u32_e32 v2, vcc, s0, v1
	v_addc_co_u32_e32 v3, vcc, 0, v3, vcc
	s_lshl_b32 s2, s20, 5
	s_mov_b64 s[0:1], 0
	v_mov_b32_e32 v1, 0
	v_mov_b32_e32 v4, s11
	;; [unrolled: 1-line block ×3, first 2 shown]
.LBB6_17:                               ; =>This Inner Loop Header: Depth=1
	global_load_dwordx4 v[6:9], v[2:3], off
	global_load_dwordx4 v[10:13], v[2:3], off offset:16
	v_add_co_u32_e32 v2, vcc, s2, v2
	v_add_u32_e32 v5, s20, v5
	v_addc_co_u32_e32 v3, vcc, v3, v4, vcc
	v_cmp_le_i32_e32 vcc, s10, v5
	s_or_b64 s[0:1], vcc, s[0:1]
	s_waitcnt vmcnt(1)
	v_fmac_f32_e32 v1, v6, v6
	v_fmac_f32_e32 v1, v7, v7
	v_fmac_f32_e32 v1, v8, v8
	v_fmac_f32_e32 v1, v9, v9
	s_waitcnt vmcnt(0)
	v_fmac_f32_e32 v1, v10, v10
	v_fmac_f32_e32 v1, v11, v11
	;; [unrolled: 1-line block ×4, first 2 shown]
	s_andn2_b64 exec, exec, s[0:1]
	s_cbranch_execnz .LBB6_17
; %bb.18:
	s_or_b64 exec, exec, s[0:1]
.LBB6_19:
	s_or_b64 exec, exec, s[8:9]
.LBB6_20:
	v_mbcnt_lo_u32_b32 v2, -1, 0
	v_mbcnt_hi_u32_b32 v2, -1, v2
	v_and_b32_e32 v3, 63, v2
	v_cmp_ne_u32_e32 vcc, 63, v3
	v_addc_co_u32_e32 v4, vcc, 0, v2, vcc
	v_lshlrev_b32_e32 v4, 2, v4
	ds_bpermute_b32 v4, v4, v1
	v_and_b32_e32 v5, 0x3c0, v0
	v_sub_u32_e64 v5, s20, v5 clamp
	v_add_u32_e32 v6, 1, v2
	v_cmp_lt_u32_e32 vcc, v6, v5
	s_waitcnt lgkmcnt(0)
	v_add_f32_e32 v4, v1, v4
	v_cndmask_b32_e32 v1, v1, v4, vcc
	v_cmp_gt_u32_e32 vcc, 62, v3
	v_cndmask_b32_e64 v4, 0, 1, vcc
	v_lshlrev_b32_e32 v4, 1, v4
	v_add_lshl_u32 v4, v4, v2, 2
	ds_bpermute_b32 v4, v4, v1
	v_add_u32_e32 v6, 2, v2
	v_cmp_lt_u32_e32 vcc, v6, v5
	v_add_u32_e32 v6, 4, v2
	s_waitcnt lgkmcnt(0)
	v_add_f32_e32 v4, v1, v4
	v_cndmask_b32_e32 v1, v1, v4, vcc
	v_cmp_gt_u32_e32 vcc, 60, v3
	v_cndmask_b32_e64 v4, 0, 1, vcc
	v_lshlrev_b32_e32 v4, 2, v4
	v_add_lshl_u32 v4, v4, v2, 2
	ds_bpermute_b32 v4, v4, v1
	v_cmp_lt_u32_e32 vcc, v6, v5
	v_add_u32_e32 v6, 8, v2
	s_waitcnt lgkmcnt(0)
	v_add_f32_e32 v4, v1, v4
	v_cndmask_b32_e32 v1, v1, v4, vcc
	v_cmp_gt_u32_e32 vcc, 56, v3
	v_cndmask_b32_e64 v4, 0, 1, vcc
	v_lshlrev_b32_e32 v4, 3, v4
	v_add_lshl_u32 v4, v4, v2, 2
	ds_bpermute_b32 v4, v4, v1
	;; [unrolled: 10-line block ×3, first 2 shown]
	v_cmp_lt_u32_e32 vcc, v6, v5
	s_waitcnt lgkmcnt(0)
	v_add_f32_e32 v4, v1, v4
	v_cndmask_b32_e32 v1, v1, v4, vcc
	v_cmp_gt_u32_e32 vcc, 32, v3
	v_cndmask_b32_e64 v3, 0, 1, vcc
	v_lshlrev_b32_e32 v3, 5, v3
	v_add_lshl_u32 v3, v3, v2, 2
	ds_bpermute_b32 v3, v3, v1
	v_add_u32_e32 v4, 32, v2
	v_cmp_lt_u32_e32 vcc, v4, v5
	s_waitcnt lgkmcnt(0)
	v_add_f32_e32 v3, v1, v3
	v_cndmask_b32_e32 v1, v1, v3, vcc
	v_cmp_eq_u32_e32 vcc, 0, v2
	s_and_saveexec_b64 s[0:1], vcc
	s_cbranch_execz .LBB6_22
; %bb.21:
	v_lshrrev_b32_e32 v3, 4, v0
	v_and_b32_e32 v3, 60, v3
	ds_write_b32 v3, v1
.LBB6_22:
	s_or_b64 exec, exec, s[0:1]
	v_cmp_gt_u32_e32 vcc, 16, v0
	s_waitcnt lgkmcnt(0)
	s_barrier
	s_and_saveexec_b64 s[2:3], vcc
	s_cbranch_execz .LBB6_24
; %bb.23:
	v_lshlrev_b32_e32 v1, 2, v2
	ds_read_b32 v1, v1
	v_and_b32_e32 v3, 15, v2
	v_cmp_ne_u32_e32 vcc, 15, v3
	v_addc_co_u32_e32 v4, vcc, 0, v2, vcc
	v_lshlrev_b32_e32 v4, 2, v4
	s_waitcnt lgkmcnt(0)
	ds_bpermute_b32 v4, v4, v1
	s_add_i32 s0, s20, 63
	s_lshr_b32 s8, s0, 6
	v_add_u32_e32 v5, 1, v3
	v_cmp_gt_u32_e64 s[0:1], 14, v3
	v_cmp_gt_u32_e32 vcc, s8, v5
	v_cndmask_b32_e64 v5, 0, 1, s[0:1]
	s_waitcnt lgkmcnt(0)
	v_add_f32_e32 v4, v1, v4
	v_lshlrev_b32_e32 v5, 1, v5
	v_cndmask_b32_e32 v4, v1, v4, vcc
	v_add_lshl_u32 v5, v5, v2, 2
	ds_bpermute_b32 v5, v5, v4
	v_add_u32_e32 v6, 2, v3
	v_cmp_gt_u32_e64 s[0:1], s8, v6
	v_add_u32_e32 v6, 4, v3
	s_waitcnt lgkmcnt(0)
	v_add_f32_e32 v5, v4, v5
	v_cndmask_b32_e64 v4, v4, v5, s[0:1]
	v_cmp_gt_u32_e64 s[0:1], 12, v3
	v_cndmask_b32_e64 v5, 0, 1, s[0:1]
	v_lshlrev_b32_e32 v5, 2, v5
	v_add_lshl_u32 v5, v5, v2, 2
	ds_bpermute_b32 v5, v5, v4
	v_cmp_gt_u32_e64 s[0:1], s8, v6
	s_waitcnt lgkmcnt(0)
	v_add_f32_e32 v5, v4, v5
	v_cndmask_b32_e64 v4, v4, v5, s[0:1]
	v_cmp_gt_u32_e64 s[0:1], 8, v3
	v_cndmask_b32_e64 v5, 0, 1, s[0:1]
	v_lshlrev_b32_e32 v5, 3, v5
	v_add_lshl_u32 v2, v5, v2, 2
	ds_bpermute_b32 v2, v2, v4
	v_add_u32_e32 v3, 8, v3
	v_cmp_gt_u32_e64 s[0:1], s8, v3
	s_waitcnt lgkmcnt(0)
	v_add_f32_e32 v2, v4, v2
	v_cndmask_b32_e64 v2, v4, v2, s[0:1]
	v_cndmask_b32_e32 v1, v1, v2, vcc
.LBB6_24:
	s_or_b64 exec, exec, s[2:3]
	v_cmp_eq_u32_e32 vcc, 0, v0
	s_and_saveexec_b64 s[0:1], vcc
	s_cbranch_execz .LBB6_26
; %bb.25:
	v_cvt_f32_i32_e32 v2, s7
	s_load_dword s8, s[4:5], 0x28
	v_div_scale_f32 v3, s[2:3], v2, v2, v1
	v_rcp_f32_e32 v4, v3
	v_div_scale_f32 v5, vcc, v1, v2, v1
	s_mov_b32 s2, 0x800000
	v_fma_f32 v6, -v3, v4, 1.0
	v_fmac_f32_e32 v4, v6, v4
	v_mul_f32_e32 v6, v5, v4
	v_fma_f32 v7, -v3, v6, v5
	v_fmac_f32_e32 v6, v7, v4
	v_fma_f32 v3, -v3, v6, v5
	v_div_fmas_f32 v3, v3, v4, v6
	v_div_fixup_f32 v1, v3, v2, v1
	s_waitcnt lgkmcnt(0)
	v_add_f32_e32 v1, s8, v1
	v_mul_f32_e32 v2, 0x4b800000, v1
	v_cmp_gt_f32_e32 vcc, s2, v1
	v_cndmask_b32_e32 v1, v1, v2, vcc
	v_rsq_f32_e32 v1, v1
	v_mul_f32_e32 v2, 0x45800000, v1
	v_cndmask_b32_e32 v1, v1, v2, vcc
	v_mov_b32_e32 v2, 0
	ds_write_b32 v2, v1 offset:64
.LBB6_26:
	s_or_b64 exec, exec, s[0:1]
	s_ashr_i32 s0, s7, 31
	s_lshr_b32 s0, s0, 29
	s_add_i32 s0, s7, s0
	s_ashr_i32 s21, s0, 3
	v_cmp_gt_i32_e32 vcc, s21, v0
	s_waitcnt lgkmcnt(0)
	s_barrier
	s_and_saveexec_b64 s[0:1], vcc
	s_cbranch_execz .LBB6_109
; %bb.27:
	s_load_dwordx4 s[8:11], s[4:5], 0x18
	s_load_dwordx2 s[2:3], s[4:5], 0x0
	v_mov_b32_e32 v19, 0
	ds_read_b32 v1, v19 offset:64
	s_mul_i32 s6, s6, s7
	s_waitcnt lgkmcnt(0)
	s_load_dword s4, s[10:11], 0x0
	s_lshl_b32 s22, s20, 3
	v_lshlrev_b32_e32 v20, 5, v0
	v_lshl_add_u32 v21, v0, 3, s6
	s_lshl_b32 s23, s20, 5
	s_waitcnt lgkmcnt(0)
	v_div_scale_f32 v2, s[0:1], s4, s4, 1.0
	v_rcp_f32_e32 v3, v2
	v_div_scale_f32 v4, vcc, 1.0, s4, 1.0
	s_movk_i32 s24, 0x7f
	v_fma_f32 v5, -v2, v3, 1.0
	v_fmac_f32_e32 v3, v5, v3
	v_mul_f32_e32 v5, v4, v3
	v_fma_f32 v6, -v2, v5, v4
	v_fmac_f32_e32 v5, v6, v3
	v_fma_f32 v2, -v2, v5, v4
	v_div_fmas_f32 v2, v2, v3, v5
	v_div_fixup_f32 v24, v2, s4, 1.0
	s_mov_b64 s[4:5], 0
	s_mov_b64 s[6:7], 0x7f800000
	;; [unrolled: 1-line block ×3, first 2 shown]
	s_movk_i32 s25, 0x78
	s_movk_i32 s26, 0x80
	v_mov_b32_e32 v25, 0x77
	v_mov_b32_e32 v26, 0xffffff8a
	s_branch .LBB6_32
.LBB6_28:                               ;   in Loop: Header=BB6_32 Depth=1
	s_or_b64 exec, exec, s[0:1]
	v_lshrrev_b64 v[2:3], 20, v[2:3]
	v_cmp_gt_i32_e32 vcc, 16, v5
	v_and_b32_sdwa v4, v4, s26 dst_sel:DWORD dst_unused:UNUSED_PAD src0_sel:BYTE_3 src1_sel:DWORD
	v_min_i32_e32 v6, 15, v5
	v_cndmask_b32_e32 v3, 0, v3, vcc
	v_cndmask_b32_e32 v2, 7, v2, vcc
	v_cmp_eq_u32_e32 vcc, 0, v5
	v_cmp_eq_u64_e64 s[0:1], 0, v[2:3]
	v_lshl_or_b32 v3, v6, 3, v4
	v_and_or_b32 v2, v2, 7, v3
	s_and_b64 s[0:1], vcc, s[0:1]
	v_cndmask_b32_e64 v2, v2, 0, s[0:1]
.LBB6_29:                               ;   in Loop: Header=BB6_32 Depth=1
	s_or_b64 exec, exec, s[16:17]
.LBB6_30:                               ;   in Loop: Header=BB6_32 Depth=1
	s_andn2_saveexec_b64 s[0:1], s[14:15]
	s_or_b64 exec, exec, s[0:1]
.LBB6_31:                               ;   in Loop: Header=BB6_32 Depth=1
	s_andn2_saveexec_b64 s[0:1], s[12:13]
	s_or_b64 exec, exec, s[0:1]
	s_add_u32 s8, s8, s23
	s_addc_u32 s9, s9, 0
	v_add_u32_e32 v0, s20, v0
	s_add_u32 s18, s18, s23
	s_addc_u32 s19, s19, 0
	v_cmp_le_i32_e32 vcc, s21, v0
	v_add_u32_e32 v3, 7, v21
	s_or_b64 s[4:5], vcc, s[4:5]
	v_add_u32_e32 v21, s22, v21
	global_store_byte v3, v2, s[2:3]
	s_andn2_b64 exec, exec, s[4:5]
	s_cbranch_execz .LBB6_109
.LBB6_32:                               ; =>This Inner Loop Header: Depth=1
	v_mov_b32_e32 v2, s19
	v_add_co_u32_e32 v22, vcc, s18, v20
	v_addc_co_u32_e32 v23, vcc, 0, v2, vcc
	global_load_dwordx4 v[10:13], v[22:23], off
	v_mov_b32_e32 v2, s9
	v_add_co_u32_e32 v28, vcc, s8, v20
	v_addc_co_u32_e32 v29, vcc, 0, v2, vcc
	global_load_dwordx4 v[14:17], v[28:29], off
	global_load_dwordx4 v[2:5], v[22:23], off offset:16
	global_load_dwordx4 v[6:9], v[28:29], off offset:16
	s_waitcnt vmcnt(3)
	v_mul_f32_e32 v10, v10, v1
	s_waitcnt vmcnt(2)
	v_mul_f32_e32 v10, v10, v14
	v_mul_f32_e32 v10, v24, v10
	v_min_f32_e32 v10, 0x43600000, v10
	v_max_f32_e32 v10, 0xc3600000, v10
	v_and_b32_e32 v18, 0x7f800000, v10
	v_or_b32_sdwa v14, v10, s24 dst_sel:DWORD dst_unused:UNUSED_PAD src0_sel:BYTE_3 src1_sel:DWORD
	v_cmp_ne_u64_e32 vcc, s[6:7], v[18:19]
	s_and_saveexec_b64 s[0:1], vcc
	s_xor_b64 s[12:13], exec, s[0:1]
	s_cbranch_execz .LBB6_42
; %bb.33:                               ;   in Loop: Header=BB6_32 Depth=1
	v_and_b32_e32 v18, 0x7fffffff, v10
	v_cmp_gt_u64_e32 vcc, s[10:11], v[18:19]
	s_and_saveexec_b64 s[0:1], vcc
	s_xor_b64 s[14:15], exec, s[0:1]
	s_cbranch_execz .LBB6_41
; %bb.34:                               ;   in Loop: Header=BB6_32 Depth=1
	v_cmp_ne_u32_e32 vcc, 0, v10
	v_mov_b32_e32 v14, 0
	s_and_saveexec_b64 s[16:17], vcc
	s_cbranch_execz .LBB6_40
; %bb.35:                               ;   in Loop: Header=BB6_32 Depth=1
	v_bfe_u32 v18, v10, 23, 8
	v_and_b32_e32 v14, 0x7fffff, v10
	v_sub_u32_e64 v22, s25, v18 clamp
	v_cmp_eq_u32_e32 vcc, 0, v18
	v_or_b32_e32 v23, 0x800000, v14
	v_cndmask_b32_e32 v30, v22, v25, vcc
	v_add_u32_e32 v27, 0xffffff89, v18
	v_cndmask_b32_e32 v18, v23, v14, vcc
	v_add_u32_e32 v14, 20, v30
	v_lshlrev_b64 v[22:23], v14, -1
	v_not_b32_e32 v14, v22
	v_and_b32_e32 v22, v18, v14
	v_add_u32_e32 v14, 19, v30
	v_mov_b32_e32 v23, v19
	v_lshlrev_b64 v[28:29], v14, 1
	v_cmp_eq_u64_e64 s[0:1], v[22:23], v[28:29]
	v_lshrrev_b64 v[22:23], v30, v[18:19]
	v_cndmask_b32_e32 v14, v27, v26, vcc
	v_lshrrev_b32_e32 v18, 23, v22
	v_add3_u32 v27, v14, v30, v18
	v_and_b32_e32 v18, 0x100000, v22
	v_cmp_eq_u64_e32 vcc, 0, v[18:19]
	s_and_b64 vcc, vcc, s[0:1]
	v_subbrev_co_u32_e32 v14, vcc, 0, v22, vcc
	v_and_b32_e32 v14, 0xfffff, v14
	v_add_co_u32_e32 v22, vcc, v14, v22
	v_add_u32_e32 v28, -1, v27
	v_addc_co_u32_e32 v23, vcc, 0, v23, vcc
	v_cmp_ne_u32_e32 vcc, 0, v28
                                        ; implicit-def: $vgpr14
	s_and_saveexec_b64 s[0:1], vcc
	s_xor_b64 s[0:1], exec, s[0:1]
; %bb.36:                               ;   in Loop: Header=BB6_32 Depth=1
	v_and_b32_e32 v18, 0x1000000, v22
	v_cmp_eq_u64_e32 vcc, 0, v[18:19]
	v_bfe_u32 v18, v22, 24, 1
	v_cndmask_b32_e32 v14, v27, v28, vcc
	v_lshrrev_b64 v[22:23], v18, v[22:23]
; %bb.37:                               ;   in Loop: Header=BB6_32 Depth=1
	s_andn2_saveexec_b64 s[0:1], s[0:1]
; %bb.38:                               ;   in Loop: Header=BB6_32 Depth=1
	v_bfe_u32 v14, v22, 23, 1
; %bb.39:                               ;   in Loop: Header=BB6_32 Depth=1
	s_or_b64 exec, exec, s[0:1]
	v_lshrrev_b64 v[22:23], 20, v[22:23]
	v_cmp_gt_i32_e32 vcc, 16, v14
	v_and_b32_sdwa v10, v10, s26 dst_sel:DWORD dst_unused:UNUSED_PAD src0_sel:BYTE_3 src1_sel:DWORD
	v_min_i32_e32 v18, 15, v14
	v_cndmask_b32_e32 v23, 0, v23, vcc
	v_cndmask_b32_e32 v22, 7, v22, vcc
	v_cmp_eq_u32_e32 vcc, 0, v14
	v_cmp_eq_u64_e64 s[0:1], 0, v[22:23]
	v_lshl_or_b32 v10, v18, 3, v10
	v_and_or_b32 v10, v22, 7, v10
	s_and_b64 s[0:1], vcc, s[0:1]
	v_cndmask_b32_e64 v14, v10, 0, s[0:1]
.LBB6_40:                               ;   in Loop: Header=BB6_32 Depth=1
	s_or_b64 exec, exec, s[16:17]
.LBB6_41:                               ;   in Loop: Header=BB6_32 Depth=1
	s_andn2_saveexec_b64 s[0:1], s[14:15]
	s_or_b64 exec, exec, s[0:1]
.LBB6_42:                               ;   in Loop: Header=BB6_32 Depth=1
	s_andn2_saveexec_b64 s[0:1], s[12:13]
	s_or_b64 exec, exec, s[0:1]
	v_mul_f32_e32 v10, v11, v1
	v_mul_f32_e32 v10, v10, v15
	;; [unrolled: 1-line block ×3, first 2 shown]
	v_min_f32_e32 v10, 0x43600000, v10
	global_store_byte v21, v14, s[2:3]
	v_max_f32_e32 v14, 0xc3600000, v10
	v_and_b32_e32 v18, 0x7f800000, v14
	v_or_b32_sdwa v10, v14, s24 dst_sel:DWORD dst_unused:UNUSED_PAD src0_sel:BYTE_3 src1_sel:DWORD
	v_cmp_ne_u64_e32 vcc, s[6:7], v[18:19]
	s_and_saveexec_b64 s[0:1], vcc
	s_xor_b64 s[12:13], exec, s[0:1]
	s_cbranch_execz .LBB6_52
; %bb.43:                               ;   in Loop: Header=BB6_32 Depth=1
	v_and_b32_e32 v18, 0x7fffffff, v14
	v_cmp_gt_u64_e32 vcc, s[10:11], v[18:19]
	s_and_saveexec_b64 s[0:1], vcc
	s_xor_b64 s[14:15], exec, s[0:1]
	s_cbranch_execz .LBB6_51
; %bb.44:                               ;   in Loop: Header=BB6_32 Depth=1
	v_cmp_ne_u32_e32 vcc, 0, v14
	v_mov_b32_e32 v10, 0
	s_and_saveexec_b64 s[16:17], vcc
	s_cbranch_execz .LBB6_50
; %bb.45:                               ;   in Loop: Header=BB6_32 Depth=1
	v_bfe_u32 v11, v14, 23, 8
	v_and_b32_e32 v10, 0x7fffff, v14
	v_sub_u32_e64 v15, s25, v11 clamp
	v_cmp_eq_u32_e32 vcc, 0, v11
	v_or_b32_e32 v18, 0x800000, v10
	v_cndmask_b32_e32 v15, v15, v25, vcc
	v_cndmask_b32_e32 v18, v18, v10, vcc
	v_add_u32_e32 v10, 20, v15
	v_add_u32_e32 v27, 0xffffff89, v11
	v_lshlrev_b64 v[10:11], v10, -1
	v_not_b32_e32 v10, v10
	v_add_u32_e32 v22, 19, v15
	v_and_b32_e32 v10, v18, v10
	v_mov_b32_e32 v11, v19
	v_lshlrev_b64 v[22:23], v22, 1
	v_cmp_eq_u64_e64 s[0:1], v[10:11], v[22:23]
	v_lshrrev_b64 v[10:11], v15, v[18:19]
	v_cndmask_b32_e32 v18, v27, v26, vcc
	v_lshrrev_b32_e32 v22, 23, v10
	v_add3_u32 v22, v18, v15, v22
	v_and_b32_e32 v18, 0x100000, v10
	v_cmp_eq_u64_e32 vcc, 0, v[18:19]
	s_and_b64 vcc, vcc, s[0:1]
	v_subbrev_co_u32_e32 v15, vcc, 0, v10, vcc
	v_and_b32_e32 v15, 0xfffff, v15
	v_add_co_u32_e32 v10, vcc, v15, v10
	v_add_u32_e32 v23, -1, v22
	v_addc_co_u32_e32 v11, vcc, 0, v11, vcc
	v_cmp_ne_u32_e32 vcc, 0, v23
                                        ; implicit-def: $vgpr15
	s_and_saveexec_b64 s[0:1], vcc
	s_xor_b64 s[0:1], exec, s[0:1]
; %bb.46:                               ;   in Loop: Header=BB6_32 Depth=1
	v_and_b32_e32 v18, 0x1000000, v10
	v_cmp_eq_u64_e32 vcc, 0, v[18:19]
	v_bfe_u32 v18, v10, 24, 1
	v_cndmask_b32_e32 v15, v22, v23, vcc
	v_lshrrev_b64 v[10:11], v18, v[10:11]
; %bb.47:                               ;   in Loop: Header=BB6_32 Depth=1
	s_andn2_saveexec_b64 s[0:1], s[0:1]
; %bb.48:                               ;   in Loop: Header=BB6_32 Depth=1
	v_bfe_u32 v15, v10, 23, 1
; %bb.49:                               ;   in Loop: Header=BB6_32 Depth=1
	s_or_b64 exec, exec, s[0:1]
	v_lshrrev_b64 v[10:11], 20, v[10:11]
	v_cmp_gt_i32_e32 vcc, 16, v15
	v_and_b32_sdwa v14, v14, s26 dst_sel:DWORD dst_unused:UNUSED_PAD src0_sel:BYTE_3 src1_sel:DWORD
	v_min_i32_e32 v18, 15, v15
	v_cndmask_b32_e32 v11, 0, v11, vcc
	v_cndmask_b32_e32 v10, 7, v10, vcc
	v_cmp_eq_u32_e32 vcc, 0, v15
	v_cmp_eq_u64_e64 s[0:1], 0, v[10:11]
	v_lshl_or_b32 v11, v18, 3, v14
	v_and_or_b32 v10, v10, 7, v11
	s_and_b64 s[0:1], vcc, s[0:1]
	v_cndmask_b32_e64 v10, v10, 0, s[0:1]
.LBB6_50:                               ;   in Loop: Header=BB6_32 Depth=1
	s_or_b64 exec, exec, s[16:17]
.LBB6_51:                               ;   in Loop: Header=BB6_32 Depth=1
	s_andn2_saveexec_b64 s[0:1], s[14:15]
	s_or_b64 exec, exec, s[0:1]
.LBB6_52:                               ;   in Loop: Header=BB6_32 Depth=1
	s_andn2_saveexec_b64 s[0:1], s[12:13]
	s_or_b64 exec, exec, s[0:1]
	v_add_u32_e32 v11, 1, v21
	global_store_byte v11, v10, s[2:3]
	v_mul_f32_e32 v10, v12, v1
	v_mul_f32_e32 v10, v10, v16
	;; [unrolled: 1-line block ×3, first 2 shown]
	v_min_f32_e32 v10, 0x43600000, v10
	v_max_f32_e32 v12, 0xc3600000, v10
	v_and_b32_e32 v18, 0x7f800000, v12
	v_or_b32_sdwa v10, v12, s24 dst_sel:DWORD dst_unused:UNUSED_PAD src0_sel:BYTE_3 src1_sel:DWORD
	v_cmp_ne_u64_e32 vcc, s[6:7], v[18:19]
	s_and_saveexec_b64 s[0:1], vcc
	s_xor_b64 s[12:13], exec, s[0:1]
	s_cbranch_execz .LBB6_62
; %bb.53:                               ;   in Loop: Header=BB6_32 Depth=1
	v_and_b32_e32 v18, 0x7fffffff, v12
	v_cmp_gt_u64_e32 vcc, s[10:11], v[18:19]
	s_and_saveexec_b64 s[0:1], vcc
	s_xor_b64 s[14:15], exec, s[0:1]
	s_cbranch_execz .LBB6_61
; %bb.54:                               ;   in Loop: Header=BB6_32 Depth=1
	v_cmp_ne_u32_e32 vcc, 0, v12
	v_mov_b32_e32 v10, 0
	s_and_saveexec_b64 s[16:17], vcc
	s_cbranch_execz .LBB6_60
; %bb.55:                               ;   in Loop: Header=BB6_32 Depth=1
	v_bfe_u32 v11, v12, 23, 8
	v_and_b32_e32 v10, 0x7fffff, v12
	v_sub_u32_e64 v14, s25, v11 clamp
	v_cmp_eq_u32_e32 vcc, 0, v11
	v_or_b32_e32 v15, 0x800000, v10
	v_cndmask_b32_e32 v22, v14, v25, vcc
	v_cndmask_b32_e32 v18, v15, v10, vcc
	v_add_u32_e32 v10, 20, v22
	v_add_u32_e32 v16, 0xffffff89, v11
	v_lshlrev_b64 v[10:11], v10, -1
	v_not_b32_e32 v10, v10
	v_add_u32_e32 v14, 19, v22
	v_and_b32_e32 v10, v18, v10
	v_mov_b32_e32 v11, v19
	v_lshlrev_b64 v[14:15], v14, 1
	v_cmp_eq_u64_e64 s[0:1], v[10:11], v[14:15]
	v_lshrrev_b64 v[10:11], v22, v[18:19]
	v_and_b32_e32 v18, 0x100000, v10
	v_cndmask_b32_e32 v14, v16, v26, vcc
	v_cmp_eq_u64_e32 vcc, 0, v[18:19]
	v_lshrrev_b32_e32 v15, 23, v10
	s_and_b64 vcc, vcc, s[0:1]
	v_add3_u32 v15, v14, v22, v15
	v_subbrev_co_u32_e32 v14, vcc, 0, v10, vcc
	v_and_b32_e32 v14, 0xfffff, v14
	v_add_co_u32_e32 v10, vcc, v14, v10
	v_add_u32_e32 v16, -1, v15
	v_addc_co_u32_e32 v11, vcc, 0, v11, vcc
	v_cmp_ne_u32_e32 vcc, 0, v16
                                        ; implicit-def: $vgpr14
	s_and_saveexec_b64 s[0:1], vcc
	s_xor_b64 s[0:1], exec, s[0:1]
; %bb.56:                               ;   in Loop: Header=BB6_32 Depth=1
	v_and_b32_e32 v18, 0x1000000, v10
	v_cmp_eq_u64_e32 vcc, 0, v[18:19]
	v_cndmask_b32_e32 v14, v15, v16, vcc
	v_bfe_u32 v15, v10, 24, 1
	v_lshrrev_b64 v[10:11], v15, v[10:11]
; %bb.57:                               ;   in Loop: Header=BB6_32 Depth=1
	s_andn2_saveexec_b64 s[0:1], s[0:1]
; %bb.58:                               ;   in Loop: Header=BB6_32 Depth=1
	v_bfe_u32 v14, v10, 23, 1
; %bb.59:                               ;   in Loop: Header=BB6_32 Depth=1
	s_or_b64 exec, exec, s[0:1]
	v_lshrrev_b64 v[10:11], 20, v[10:11]
	v_cmp_gt_i32_e32 vcc, 16, v14
	v_and_b32_sdwa v12, v12, s26 dst_sel:DWORD dst_unused:UNUSED_PAD src0_sel:BYTE_3 src1_sel:DWORD
	v_min_i32_e32 v15, 15, v14
	v_cndmask_b32_e32 v11, 0, v11, vcc
	v_cndmask_b32_e32 v10, 7, v10, vcc
	v_cmp_eq_u32_e32 vcc, 0, v14
	v_cmp_eq_u64_e64 s[0:1], 0, v[10:11]
	v_lshl_or_b32 v11, v15, 3, v12
	v_and_or_b32 v10, v10, 7, v11
	s_and_b64 s[0:1], vcc, s[0:1]
	v_cndmask_b32_e64 v10, v10, 0, s[0:1]
.LBB6_60:                               ;   in Loop: Header=BB6_32 Depth=1
	s_or_b64 exec, exec, s[16:17]
.LBB6_61:                               ;   in Loop: Header=BB6_32 Depth=1
	s_andn2_saveexec_b64 s[0:1], s[14:15]
	s_or_b64 exec, exec, s[0:1]
.LBB6_62:                               ;   in Loop: Header=BB6_32 Depth=1
	s_andn2_saveexec_b64 s[0:1], s[12:13]
	s_or_b64 exec, exec, s[0:1]
	v_add_u32_e32 v11, 2, v21
	global_store_byte v11, v10, s[2:3]
	v_mul_f32_e32 v10, v13, v1
	v_mul_f32_e32 v10, v10, v17
	;; [unrolled: 1-line block ×3, first 2 shown]
	v_min_f32_e32 v10, 0x43600000, v10
	v_max_f32_e32 v12, 0xc3600000, v10
	v_and_b32_e32 v18, 0x7f800000, v12
	v_or_b32_sdwa v10, v12, s24 dst_sel:DWORD dst_unused:UNUSED_PAD src0_sel:BYTE_3 src1_sel:DWORD
	v_cmp_ne_u64_e32 vcc, s[6:7], v[18:19]
	s_and_saveexec_b64 s[0:1], vcc
	s_xor_b64 s[12:13], exec, s[0:1]
	s_cbranch_execz .LBB6_72
; %bb.63:                               ;   in Loop: Header=BB6_32 Depth=1
	v_and_b32_e32 v18, 0x7fffffff, v12
	v_cmp_gt_u64_e32 vcc, s[10:11], v[18:19]
	s_and_saveexec_b64 s[0:1], vcc
	s_xor_b64 s[14:15], exec, s[0:1]
	s_cbranch_execz .LBB6_71
; %bb.64:                               ;   in Loop: Header=BB6_32 Depth=1
	v_cmp_ne_u32_e32 vcc, 0, v12
	v_mov_b32_e32 v10, 0
	s_and_saveexec_b64 s[16:17], vcc
	s_cbranch_execz .LBB6_70
; %bb.65:                               ;   in Loop: Header=BB6_32 Depth=1
	v_bfe_u32 v11, v12, 23, 8
	v_and_b32_e32 v10, 0x7fffff, v12
	v_sub_u32_e64 v13, s25, v11 clamp
	v_cmp_eq_u32_e32 vcc, 0, v11
	v_or_b32_e32 v14, 0x800000, v10
	v_cndmask_b32_e32 v13, v13, v25, vcc
	v_cndmask_b32_e32 v18, v14, v10, vcc
	v_add_u32_e32 v10, 20, v13
	v_add_u32_e32 v16, 0xffffff89, v11
	v_lshlrev_b64 v[10:11], v10, -1
	v_not_b32_e32 v10, v10
	v_add_u32_e32 v14, 19, v13
	v_and_b32_e32 v10, v18, v10
	v_mov_b32_e32 v11, v19
	v_lshlrev_b64 v[14:15], v14, 1
	v_cmp_eq_u64_e64 s[0:1], v[10:11], v[14:15]
	v_lshrrev_b64 v[10:11], v13, v[18:19]
	v_and_b32_e32 v18, 0x100000, v10
	v_cndmask_b32_e32 v14, v16, v26, vcc
	v_cmp_eq_u64_e32 vcc, 0, v[18:19]
	v_lshrrev_b32_e32 v15, 23, v10
	s_and_b64 vcc, vcc, s[0:1]
	v_add3_u32 v14, v14, v13, v15
	v_subbrev_co_u32_e32 v13, vcc, 0, v10, vcc
	v_and_b32_e32 v13, 0xfffff, v13
	v_add_co_u32_e32 v10, vcc, v13, v10
	v_add_u32_e32 v15, -1, v14
	v_addc_co_u32_e32 v11, vcc, 0, v11, vcc
	v_cmp_ne_u32_e32 vcc, 0, v15
                                        ; implicit-def: $vgpr13
	s_and_saveexec_b64 s[0:1], vcc
	s_xor_b64 s[0:1], exec, s[0:1]
; %bb.66:                               ;   in Loop: Header=BB6_32 Depth=1
	v_and_b32_e32 v18, 0x1000000, v10
	v_cmp_eq_u64_e32 vcc, 0, v[18:19]
	v_cndmask_b32_e32 v13, v14, v15, vcc
	v_bfe_u32 v14, v10, 24, 1
	v_lshrrev_b64 v[10:11], v14, v[10:11]
; %bb.67:                               ;   in Loop: Header=BB6_32 Depth=1
	s_andn2_saveexec_b64 s[0:1], s[0:1]
; %bb.68:                               ;   in Loop: Header=BB6_32 Depth=1
	v_bfe_u32 v13, v10, 23, 1
; %bb.69:                               ;   in Loop: Header=BB6_32 Depth=1
	s_or_b64 exec, exec, s[0:1]
	v_lshrrev_b64 v[10:11], 20, v[10:11]
	v_cmp_gt_i32_e32 vcc, 16, v13
	v_and_b32_sdwa v12, v12, s26 dst_sel:DWORD dst_unused:UNUSED_PAD src0_sel:BYTE_3 src1_sel:DWORD
	v_min_i32_e32 v14, 15, v13
	v_cndmask_b32_e32 v11, 0, v11, vcc
	v_cndmask_b32_e32 v10, 7, v10, vcc
	v_cmp_eq_u32_e32 vcc, 0, v13
	v_cmp_eq_u64_e64 s[0:1], 0, v[10:11]
	v_lshl_or_b32 v11, v14, 3, v12
	v_and_or_b32 v10, v10, 7, v11
	s_and_b64 s[0:1], vcc, s[0:1]
	v_cndmask_b32_e64 v10, v10, 0, s[0:1]
.LBB6_70:                               ;   in Loop: Header=BB6_32 Depth=1
	s_or_b64 exec, exec, s[16:17]
.LBB6_71:                               ;   in Loop: Header=BB6_32 Depth=1
	s_andn2_saveexec_b64 s[0:1], s[14:15]
	s_or_b64 exec, exec, s[0:1]
.LBB6_72:                               ;   in Loop: Header=BB6_32 Depth=1
	s_andn2_saveexec_b64 s[0:1], s[12:13]
	s_or_b64 exec, exec, s[0:1]
	s_waitcnt vmcnt(4)
	v_mul_f32_e32 v2, v2, v1
	s_waitcnt vmcnt(3)
	v_mul_f32_e32 v2, v2, v6
	v_mul_f32_e32 v2, v24, v2
	v_min_f32_e32 v2, 0x43600000, v2
	v_max_f32_e32 v2, 0xc3600000, v2
	v_and_b32_e32 v18, 0x7f800000, v2
	v_add_u32_e32 v11, 3, v21
	v_or_b32_sdwa v6, v2, s24 dst_sel:DWORD dst_unused:UNUSED_PAD src0_sel:BYTE_3 src1_sel:DWORD
	v_cmp_ne_u64_e32 vcc, s[6:7], v[18:19]
	global_store_byte v11, v10, s[2:3]
	s_and_saveexec_b64 s[0:1], vcc
	s_xor_b64 s[12:13], exec, s[0:1]
	s_cbranch_execz .LBB6_82
; %bb.73:                               ;   in Loop: Header=BB6_32 Depth=1
	v_and_b32_e32 v18, 0x7fffffff, v2
	v_cmp_gt_u64_e32 vcc, s[10:11], v[18:19]
	s_and_saveexec_b64 s[0:1], vcc
	s_xor_b64 s[14:15], exec, s[0:1]
	s_cbranch_execz .LBB6_81
; %bb.74:                               ;   in Loop: Header=BB6_32 Depth=1
	v_cmp_ne_u32_e32 vcc, 0, v2
	v_mov_b32_e32 v6, 0
	s_and_saveexec_b64 s[16:17], vcc
	s_cbranch_execz .LBB6_80
; %bb.75:                               ;   in Loop: Header=BB6_32 Depth=1
	v_bfe_u32 v10, v2, 23, 8
	v_and_b32_e32 v6, 0x7fffff, v2
	v_sub_u32_e64 v11, s25, v10 clamp
	v_cmp_eq_u32_e32 vcc, 0, v10
	v_or_b32_e32 v12, 0x800000, v6
	v_cndmask_b32_e32 v15, v11, v25, vcc
	v_cndmask_b32_e32 v18, v12, v6, vcc
	v_add_u32_e32 v6, 20, v15
	v_add_u32_e32 v14, 0xffffff89, v10
	v_lshlrev_b64 v[10:11], v6, -1
	v_not_b32_e32 v6, v10
	v_and_b32_e32 v10, v18, v6
	v_add_u32_e32 v6, 19, v15
	v_mov_b32_e32 v11, v19
	v_lshlrev_b64 v[12:13], v6, 1
	v_cmp_eq_u64_e64 s[0:1], v[10:11], v[12:13]
	v_lshrrev_b64 v[10:11], v15, v[18:19]
	v_and_b32_e32 v18, 0x100000, v10
	v_cndmask_b32_e32 v6, v14, v26, vcc
	v_cmp_eq_u64_e32 vcc, 0, v[18:19]
	v_lshrrev_b32_e32 v12, 23, v10
	s_and_b64 vcc, vcc, s[0:1]
	v_add3_u32 v12, v6, v15, v12
	v_subbrev_co_u32_e32 v6, vcc, 0, v10, vcc
	v_and_b32_e32 v6, 0xfffff, v6
	v_add_co_u32_e32 v10, vcc, v6, v10
	v_add_u32_e32 v13, -1, v12
	v_addc_co_u32_e32 v11, vcc, 0, v11, vcc
	v_cmp_ne_u32_e32 vcc, 0, v13
                                        ; implicit-def: $vgpr6
	s_and_saveexec_b64 s[0:1], vcc
	s_xor_b64 s[0:1], exec, s[0:1]
; %bb.76:                               ;   in Loop: Header=BB6_32 Depth=1
	v_and_b32_e32 v18, 0x1000000, v10
	v_cmp_eq_u64_e32 vcc, 0, v[18:19]
	v_cndmask_b32_e32 v6, v12, v13, vcc
	v_bfe_u32 v12, v10, 24, 1
	v_lshrrev_b64 v[10:11], v12, v[10:11]
; %bb.77:                               ;   in Loop: Header=BB6_32 Depth=1
	s_andn2_saveexec_b64 s[0:1], s[0:1]
; %bb.78:                               ;   in Loop: Header=BB6_32 Depth=1
	v_bfe_u32 v6, v10, 23, 1
; %bb.79:                               ;   in Loop: Header=BB6_32 Depth=1
	s_or_b64 exec, exec, s[0:1]
	v_lshrrev_b64 v[10:11], 20, v[10:11]
	v_cmp_gt_i32_e32 vcc, 16, v6
	v_and_b32_sdwa v2, v2, s26 dst_sel:DWORD dst_unused:UNUSED_PAD src0_sel:BYTE_3 src1_sel:DWORD
	v_min_i32_e32 v12, 15, v6
	v_cndmask_b32_e32 v11, 0, v11, vcc
	v_cndmask_b32_e32 v10, 7, v10, vcc
	v_cmp_eq_u32_e32 vcc, 0, v6
	v_cmp_eq_u64_e64 s[0:1], 0, v[10:11]
	v_lshl_or_b32 v2, v12, 3, v2
	v_and_or_b32 v2, v10, 7, v2
	s_and_b64 s[0:1], vcc, s[0:1]
	v_cndmask_b32_e64 v6, v2, 0, s[0:1]
.LBB6_80:                               ;   in Loop: Header=BB6_32 Depth=1
	s_or_b64 exec, exec, s[16:17]
.LBB6_81:                               ;   in Loop: Header=BB6_32 Depth=1
	s_andn2_saveexec_b64 s[0:1], s[14:15]
	s_or_b64 exec, exec, s[0:1]
.LBB6_82:                               ;   in Loop: Header=BB6_32 Depth=1
	s_andn2_saveexec_b64 s[0:1], s[12:13]
	s_or_b64 exec, exec, s[0:1]
	v_add_u32_e32 v2, 4, v21
	global_store_byte v2, v6, s[2:3]
	v_mul_f32_e32 v2, v3, v1
	v_mul_f32_e32 v2, v2, v7
	;; [unrolled: 1-line block ×3, first 2 shown]
	v_min_f32_e32 v2, 0x43600000, v2
	v_max_f32_e32 v6, 0xc3600000, v2
	v_and_b32_e32 v18, 0x7f800000, v6
	v_or_b32_sdwa v2, v6, s24 dst_sel:DWORD dst_unused:UNUSED_PAD src0_sel:BYTE_3 src1_sel:DWORD
	v_cmp_ne_u64_e32 vcc, s[6:7], v[18:19]
	s_and_saveexec_b64 s[0:1], vcc
	s_xor_b64 s[12:13], exec, s[0:1]
	s_cbranch_execz .LBB6_92
; %bb.83:                               ;   in Loop: Header=BB6_32 Depth=1
	v_and_b32_e32 v18, 0x7fffffff, v6
	v_cmp_gt_u64_e32 vcc, s[10:11], v[18:19]
	s_and_saveexec_b64 s[0:1], vcc
	s_xor_b64 s[14:15], exec, s[0:1]
	s_cbranch_execz .LBB6_91
; %bb.84:                               ;   in Loop: Header=BB6_32 Depth=1
	v_cmp_ne_u32_e32 vcc, 0, v6
	v_mov_b32_e32 v2, 0
	s_and_saveexec_b64 s[16:17], vcc
	s_cbranch_execz .LBB6_90
; %bb.85:                               ;   in Loop: Header=BB6_32 Depth=1
	v_bfe_u32 v3, v6, 23, 8
	v_and_b32_e32 v2, 0x7fffff, v6
	v_sub_u32_e64 v7, s25, v3 clamp
	v_cmp_eq_u32_e32 vcc, 0, v3
	v_or_b32_e32 v10, 0x800000, v2
	v_cndmask_b32_e32 v7, v7, v25, vcc
	v_cndmask_b32_e32 v18, v10, v2, vcc
	v_add_u32_e32 v2, 20, v7
	v_add_u32_e32 v12, 0xffffff89, v3
	v_lshlrev_b64 v[2:3], v2, -1
	v_not_b32_e32 v2, v2
	v_add_u32_e32 v10, 19, v7
	v_and_b32_e32 v2, v18, v2
	v_mov_b32_e32 v3, v19
	v_lshlrev_b64 v[10:11], v10, 1
	v_cmp_eq_u64_e64 s[0:1], v[2:3], v[10:11]
	v_lshrrev_b64 v[2:3], v7, v[18:19]
	v_and_b32_e32 v18, 0x100000, v2
	v_cndmask_b32_e32 v10, v12, v26, vcc
	v_cmp_eq_u64_e32 vcc, 0, v[18:19]
	v_lshrrev_b32_e32 v11, 23, v2
	s_and_b64 vcc, vcc, s[0:1]
	v_add3_u32 v10, v10, v7, v11
	v_subbrev_co_u32_e32 v7, vcc, 0, v2, vcc
	v_and_b32_e32 v7, 0xfffff, v7
	v_add_co_u32_e32 v2, vcc, v7, v2
	v_add_u32_e32 v11, -1, v10
	v_addc_co_u32_e32 v3, vcc, 0, v3, vcc
	v_cmp_ne_u32_e32 vcc, 0, v11
                                        ; implicit-def: $vgpr7
	s_and_saveexec_b64 s[0:1], vcc
	s_xor_b64 s[0:1], exec, s[0:1]
; %bb.86:                               ;   in Loop: Header=BB6_32 Depth=1
	v_and_b32_e32 v18, 0x1000000, v2
	v_cmp_eq_u64_e32 vcc, 0, v[18:19]
	v_cndmask_b32_e32 v7, v10, v11, vcc
	v_bfe_u32 v10, v2, 24, 1
	v_lshrrev_b64 v[2:3], v10, v[2:3]
; %bb.87:                               ;   in Loop: Header=BB6_32 Depth=1
	s_andn2_saveexec_b64 s[0:1], s[0:1]
; %bb.88:                               ;   in Loop: Header=BB6_32 Depth=1
	v_bfe_u32 v7, v2, 23, 1
; %bb.89:                               ;   in Loop: Header=BB6_32 Depth=1
	s_or_b64 exec, exec, s[0:1]
	v_lshrrev_b64 v[2:3], 20, v[2:3]
	v_cmp_gt_i32_e32 vcc, 16, v7
	v_and_b32_sdwa v6, v6, s26 dst_sel:DWORD dst_unused:UNUSED_PAD src0_sel:BYTE_3 src1_sel:DWORD
	v_min_i32_e32 v10, 15, v7
	v_cndmask_b32_e32 v3, 0, v3, vcc
	v_cndmask_b32_e32 v2, 7, v2, vcc
	v_cmp_eq_u32_e32 vcc, 0, v7
	v_cmp_eq_u64_e64 s[0:1], 0, v[2:3]
	v_lshl_or_b32 v3, v10, 3, v6
	v_and_or_b32 v2, v2, 7, v3
	s_and_b64 s[0:1], vcc, s[0:1]
	v_cndmask_b32_e64 v2, v2, 0, s[0:1]
.LBB6_90:                               ;   in Loop: Header=BB6_32 Depth=1
	s_or_b64 exec, exec, s[16:17]
.LBB6_91:                               ;   in Loop: Header=BB6_32 Depth=1
	s_andn2_saveexec_b64 s[0:1], s[14:15]
	s_or_b64 exec, exec, s[0:1]
.LBB6_92:                               ;   in Loop: Header=BB6_32 Depth=1
	s_andn2_saveexec_b64 s[0:1], s[12:13]
	s_or_b64 exec, exec, s[0:1]
	v_add_u32_e32 v3, 5, v21
	global_store_byte v3, v2, s[2:3]
	v_mul_f32_e32 v2, v4, v1
	v_mul_f32_e32 v2, v2, v8
	;; [unrolled: 1-line block ×3, first 2 shown]
	v_min_f32_e32 v2, 0x43600000, v2
	v_max_f32_e32 v4, 0xc3600000, v2
	v_and_b32_e32 v18, 0x7f800000, v4
	v_or_b32_sdwa v2, v4, s24 dst_sel:DWORD dst_unused:UNUSED_PAD src0_sel:BYTE_3 src1_sel:DWORD
	v_cmp_ne_u64_e32 vcc, s[6:7], v[18:19]
	s_and_saveexec_b64 s[0:1], vcc
	s_xor_b64 s[12:13], exec, s[0:1]
	s_cbranch_execz .LBB6_102
; %bb.93:                               ;   in Loop: Header=BB6_32 Depth=1
	v_and_b32_e32 v18, 0x7fffffff, v4
	v_cmp_gt_u64_e32 vcc, s[10:11], v[18:19]
	s_and_saveexec_b64 s[0:1], vcc
	s_xor_b64 s[14:15], exec, s[0:1]
	s_cbranch_execz .LBB6_101
; %bb.94:                               ;   in Loop: Header=BB6_32 Depth=1
	v_cmp_ne_u32_e32 vcc, 0, v4
	v_mov_b32_e32 v2, 0
	s_and_saveexec_b64 s[16:17], vcc
	s_cbranch_execz .LBB6_100
; %bb.95:                               ;   in Loop: Header=BB6_32 Depth=1
	v_bfe_u32 v3, v4, 23, 8
	v_and_b32_e32 v2, 0x7fffff, v4
	v_sub_u32_e64 v6, s25, v3 clamp
	v_cmp_eq_u32_e32 vcc, 0, v3
	v_or_b32_e32 v7, 0x800000, v2
	v_cndmask_b32_e32 v10, v6, v25, vcc
	v_cndmask_b32_e32 v18, v7, v2, vcc
	v_add_u32_e32 v2, 20, v10
	v_add_u32_e32 v8, 0xffffff89, v3
	v_lshlrev_b64 v[2:3], v2, -1
	v_not_b32_e32 v2, v2
	v_add_u32_e32 v6, 19, v10
	v_and_b32_e32 v2, v18, v2
	v_mov_b32_e32 v3, v19
	v_lshlrev_b64 v[6:7], v6, 1
	v_cmp_eq_u64_e64 s[0:1], v[2:3], v[6:7]
	v_lshrrev_b64 v[2:3], v10, v[18:19]
	v_and_b32_e32 v18, 0x100000, v2
	v_cndmask_b32_e32 v6, v8, v26, vcc
	v_cmp_eq_u64_e32 vcc, 0, v[18:19]
	v_lshrrev_b32_e32 v7, 23, v2
	s_and_b64 vcc, vcc, s[0:1]
	v_add3_u32 v7, v6, v10, v7
	v_subbrev_co_u32_e32 v6, vcc, 0, v2, vcc
	v_and_b32_e32 v6, 0xfffff, v6
	v_add_co_u32_e32 v2, vcc, v6, v2
	v_add_u32_e32 v8, -1, v7
	v_addc_co_u32_e32 v3, vcc, 0, v3, vcc
	v_cmp_ne_u32_e32 vcc, 0, v8
                                        ; implicit-def: $vgpr6
	s_and_saveexec_b64 s[0:1], vcc
	s_xor_b64 s[0:1], exec, s[0:1]
; %bb.96:                               ;   in Loop: Header=BB6_32 Depth=1
	v_and_b32_e32 v18, 0x1000000, v2
	v_cmp_eq_u64_e32 vcc, 0, v[18:19]
	v_cndmask_b32_e32 v6, v7, v8, vcc
	v_bfe_u32 v7, v2, 24, 1
	v_lshrrev_b64 v[2:3], v7, v[2:3]
; %bb.97:                               ;   in Loop: Header=BB6_32 Depth=1
	s_andn2_saveexec_b64 s[0:1], s[0:1]
; %bb.98:                               ;   in Loop: Header=BB6_32 Depth=1
	v_bfe_u32 v6, v2, 23, 1
; %bb.99:                               ;   in Loop: Header=BB6_32 Depth=1
	s_or_b64 exec, exec, s[0:1]
	v_lshrrev_b64 v[2:3], 20, v[2:3]
	v_cmp_gt_i32_e32 vcc, 16, v6
	v_and_b32_sdwa v4, v4, s26 dst_sel:DWORD dst_unused:UNUSED_PAD src0_sel:BYTE_3 src1_sel:DWORD
	v_min_i32_e32 v7, 15, v6
	v_cndmask_b32_e32 v3, 0, v3, vcc
	v_cndmask_b32_e32 v2, 7, v2, vcc
	v_cmp_eq_u32_e32 vcc, 0, v6
	v_cmp_eq_u64_e64 s[0:1], 0, v[2:3]
	v_lshl_or_b32 v3, v7, 3, v4
	v_and_or_b32 v2, v2, 7, v3
	s_and_b64 s[0:1], vcc, s[0:1]
	v_cndmask_b32_e64 v2, v2, 0, s[0:1]
.LBB6_100:                              ;   in Loop: Header=BB6_32 Depth=1
	s_or_b64 exec, exec, s[16:17]
.LBB6_101:                              ;   in Loop: Header=BB6_32 Depth=1
	s_andn2_saveexec_b64 s[0:1], s[14:15]
	s_or_b64 exec, exec, s[0:1]
.LBB6_102:                              ;   in Loop: Header=BB6_32 Depth=1
	s_andn2_saveexec_b64 s[0:1], s[12:13]
	s_or_b64 exec, exec, s[0:1]
	v_add_u32_e32 v3, 6, v21
	global_store_byte v3, v2, s[2:3]
	v_mul_f32_e32 v2, v5, v1
	v_mul_f32_e32 v2, v2, v9
	;; [unrolled: 1-line block ×3, first 2 shown]
	v_min_f32_e32 v2, 0x43600000, v2
	v_max_f32_e32 v4, 0xc3600000, v2
	v_and_b32_e32 v18, 0x7f800000, v4
	v_or_b32_sdwa v2, v4, s24 dst_sel:DWORD dst_unused:UNUSED_PAD src0_sel:BYTE_3 src1_sel:DWORD
	v_cmp_ne_u64_e32 vcc, s[6:7], v[18:19]
	s_and_saveexec_b64 s[0:1], vcc
	s_xor_b64 s[12:13], exec, s[0:1]
	s_cbranch_execz .LBB6_31
; %bb.103:                              ;   in Loop: Header=BB6_32 Depth=1
	v_and_b32_e32 v18, 0x7fffffff, v4
	v_cmp_gt_u64_e32 vcc, s[10:11], v[18:19]
	s_and_saveexec_b64 s[0:1], vcc
	s_xor_b64 s[14:15], exec, s[0:1]
	s_cbranch_execz .LBB6_30
; %bb.104:                              ;   in Loop: Header=BB6_32 Depth=1
	v_cmp_ne_u32_e32 vcc, 0, v4
	v_mov_b32_e32 v2, 0
	s_and_saveexec_b64 s[16:17], vcc
	s_cbranch_execz .LBB6_29
; %bb.105:                              ;   in Loop: Header=BB6_32 Depth=1
	v_bfe_u32 v3, v4, 23, 8
	v_and_b32_e32 v2, 0x7fffff, v4
	v_sub_u32_e64 v5, s25, v3 clamp
	v_cmp_eq_u32_e32 vcc, 0, v3
	v_or_b32_e32 v6, 0x800000, v2
	v_cndmask_b32_e32 v5, v5, v25, vcc
	v_cndmask_b32_e32 v18, v6, v2, vcc
	v_add_u32_e32 v2, 20, v5
	v_add_u32_e32 v8, 0xffffff89, v3
	v_lshlrev_b64 v[2:3], v2, -1
	v_not_b32_e32 v2, v2
	v_add_u32_e32 v6, 19, v5
	v_and_b32_e32 v2, v18, v2
	v_mov_b32_e32 v3, v19
	v_lshlrev_b64 v[6:7], v6, 1
	v_cmp_eq_u64_e64 s[0:1], v[2:3], v[6:7]
	v_lshrrev_b64 v[2:3], v5, v[18:19]
	v_and_b32_e32 v18, 0x100000, v2
	v_cndmask_b32_e32 v6, v8, v26, vcc
	v_cmp_eq_u64_e32 vcc, 0, v[18:19]
	v_lshrrev_b32_e32 v7, 23, v2
	s_and_b64 vcc, vcc, s[0:1]
	v_add3_u32 v6, v6, v5, v7
	v_subbrev_co_u32_e32 v5, vcc, 0, v2, vcc
	v_and_b32_e32 v5, 0xfffff, v5
	v_add_co_u32_e32 v2, vcc, v5, v2
	v_add_u32_e32 v7, -1, v6
	v_addc_co_u32_e32 v3, vcc, 0, v3, vcc
	v_cmp_ne_u32_e32 vcc, 0, v7
                                        ; implicit-def: $vgpr5
	s_and_saveexec_b64 s[0:1], vcc
	s_xor_b64 s[0:1], exec, s[0:1]
; %bb.106:                              ;   in Loop: Header=BB6_32 Depth=1
	v_and_b32_e32 v18, 0x1000000, v2
	v_cmp_eq_u64_e32 vcc, 0, v[18:19]
	v_cndmask_b32_e32 v5, v6, v7, vcc
	v_bfe_u32 v6, v2, 24, 1
	v_lshrrev_b64 v[2:3], v6, v[2:3]
; %bb.107:                              ;   in Loop: Header=BB6_32 Depth=1
	s_andn2_saveexec_b64 s[0:1], s[0:1]
	s_cbranch_execz .LBB6_28
; %bb.108:                              ;   in Loop: Header=BB6_32 Depth=1
	v_bfe_u32 v5, v2, 23, 1
	s_branch .LBB6_28
.LBB6_109:
	s_endpgm
	.section	.rodata,"a",@progbits
	.p2align	6, 0x0
	.amdhsa_kernel _ZN4vllm32rms_norm_static_fp8_quant_kernelIfN3c1015Float8_e4m3fnuzELi8EEEvPT0_PKT_iS7_PKffii
		.amdhsa_group_segment_fixed_size 68
		.amdhsa_private_segment_fixed_size 0
		.amdhsa_kernarg_size 312
		.amdhsa_user_sgpr_count 6
		.amdhsa_user_sgpr_private_segment_buffer 1
		.amdhsa_user_sgpr_dispatch_ptr 0
		.amdhsa_user_sgpr_queue_ptr 0
		.amdhsa_user_sgpr_kernarg_segment_ptr 1
		.amdhsa_user_sgpr_dispatch_id 0
		.amdhsa_user_sgpr_flat_scratch_init 0
		.amdhsa_user_sgpr_kernarg_preload_length 0
		.amdhsa_user_sgpr_kernarg_preload_offset 0
		.amdhsa_user_sgpr_private_segment_size 0
		.amdhsa_uses_dynamic_stack 0
		.amdhsa_system_sgpr_private_segment_wavefront_offset 0
		.amdhsa_system_sgpr_workgroup_id_x 1
		.amdhsa_system_sgpr_workgroup_id_y 0
		.amdhsa_system_sgpr_workgroup_id_z 0
		.amdhsa_system_sgpr_workgroup_info 0
		.amdhsa_system_vgpr_workitem_id 0
		.amdhsa_next_free_vgpr 31
		.amdhsa_next_free_sgpr 27
		.amdhsa_accum_offset 32
		.amdhsa_reserve_vcc 1
		.amdhsa_reserve_flat_scratch 0
		.amdhsa_float_round_mode_32 0
		.amdhsa_float_round_mode_16_64 0
		.amdhsa_float_denorm_mode_32 3
		.amdhsa_float_denorm_mode_16_64 3
		.amdhsa_dx10_clamp 1
		.amdhsa_ieee_mode 1
		.amdhsa_fp16_overflow 0
		.amdhsa_tg_split 0
		.amdhsa_exception_fp_ieee_invalid_op 0
		.amdhsa_exception_fp_denorm_src 0
		.amdhsa_exception_fp_ieee_div_zero 0
		.amdhsa_exception_fp_ieee_overflow 0
		.amdhsa_exception_fp_ieee_underflow 0
		.amdhsa_exception_fp_ieee_inexact 0
		.amdhsa_exception_int_div_zero 0
	.end_amdhsa_kernel
	.section	.text._ZN4vllm32rms_norm_static_fp8_quant_kernelIfN3c1015Float8_e4m3fnuzELi8EEEvPT0_PKT_iS7_PKffii,"axG",@progbits,_ZN4vllm32rms_norm_static_fp8_quant_kernelIfN3c1015Float8_e4m3fnuzELi8EEEvPT0_PKT_iS7_PKffii,comdat
.Lfunc_end6:
	.size	_ZN4vllm32rms_norm_static_fp8_quant_kernelIfN3c1015Float8_e4m3fnuzELi8EEEvPT0_PKT_iS7_PKffii, .Lfunc_end6-_ZN4vllm32rms_norm_static_fp8_quant_kernelIfN3c1015Float8_e4m3fnuzELi8EEEvPT0_PKT_iS7_PKffii
                                        ; -- End function
	.section	.AMDGPU.csdata,"",@progbits
; Kernel info:
; codeLenInByte = 5272
; NumSgprs: 31
; NumVgprs: 31
; NumAgprs: 0
; TotalNumVgprs: 31
; ScratchSize: 0
; MemoryBound: 1
; FloatMode: 240
; IeeeMode: 1
; LDSByteSize: 68 bytes/workgroup (compile time only)
; SGPRBlocks: 3
; VGPRBlocks: 3
; NumSGPRsForWavesPerEU: 31
; NumVGPRsForWavesPerEU: 31
; AccumOffset: 32
; Occupancy: 8
; WaveLimiterHint : 0
; COMPUTE_PGM_RSRC2:SCRATCH_EN: 0
; COMPUTE_PGM_RSRC2:USER_SGPR: 6
; COMPUTE_PGM_RSRC2:TRAP_HANDLER: 0
; COMPUTE_PGM_RSRC2:TGID_X_EN: 1
; COMPUTE_PGM_RSRC2:TGID_Y_EN: 0
; COMPUTE_PGM_RSRC2:TGID_Z_EN: 0
; COMPUTE_PGM_RSRC2:TIDIG_COMP_CNT: 0
; COMPUTE_PGM_RSRC3_GFX90A:ACCUM_OFFSET: 7
; COMPUTE_PGM_RSRC3_GFX90A:TG_SPLIT: 0
	.section	.text._ZN4vllm32rms_norm_static_fp8_quant_kernelIfN3c1015Float8_e4m3fnuzELi4EEEvPT0_PKT_iS7_PKffii,"axG",@progbits,_ZN4vllm32rms_norm_static_fp8_quant_kernelIfN3c1015Float8_e4m3fnuzELi4EEEvPT0_PKT_iS7_PKffii,comdat
	.protected	_ZN4vllm32rms_norm_static_fp8_quant_kernelIfN3c1015Float8_e4m3fnuzELi4EEEvPT0_PKT_iS7_PKffii ; -- Begin function _ZN4vllm32rms_norm_static_fp8_quant_kernelIfN3c1015Float8_e4m3fnuzELi4EEEvPT0_PKT_iS7_PKffii
	.globl	_ZN4vllm32rms_norm_static_fp8_quant_kernelIfN3c1015Float8_e4m3fnuzELi4EEEvPT0_PKT_iS7_PKffii
	.p2align	8
	.type	_ZN4vllm32rms_norm_static_fp8_quant_kernelIfN3c1015Float8_e4m3fnuzELi4EEEvPT0_PKT_iS7_PKffii,@function
_ZN4vllm32rms_norm_static_fp8_quant_kernelIfN3c1015Float8_e4m3fnuzELi4EEEvPT0_PKT_iS7_PKffii: ; @_ZN4vllm32rms_norm_static_fp8_quant_kernelIfN3c1015Float8_e4m3fnuzELi4EEEvPT0_PKT_iS7_PKffii
; %bb.0:
	s_load_dword s2, s[4:5], 0x10
	s_load_dwordx2 s[0:1], s[4:5], 0x8
	s_load_dword s14, s[4:5], 0x30
	s_load_dword s10, s[4:5], 0x44
	s_mov_b32 s9, 0
	s_waitcnt lgkmcnt(0)
	s_mul_i32 s8, s6, s2
	s_lshl_b64 s[2:3], s[8:9], 2
	s_add_u32 s18, s0, s2
	s_addc_u32 s7, s1, s3
	s_and_b32 s19, s10, 0xffff
	s_and_b32 s8, s18, 15
	s_cmp_lg_u64 s[8:9], 0
	s_cselect_b64 s[8:9], -1, 0
	s_and_b32 s10, s14, 3
	s_cmp_lg_u32 s10, 0
	s_cselect_b64 s[10:11], -1, 0
	s_or_b64 s[8:9], s[8:9], s[10:11]
	s_and_b64 vcc, exec, s[8:9]
	s_cbranch_vccz .LBB7_14
; %bb.1:
	s_sub_i32 s8, 0, s18
	s_bfe_u32 s8, s8, 0x20002
	s_min_i32 s8, s8, s14
	v_cmp_gt_i32_e32 vcc, s8, v0
	v_mov_b32_e32 v1, 0
	s_and_saveexec_b64 s[10:11], vcc
	s_cbranch_execz .LBB7_5
; %bb.2:
	s_add_u32 s9, s0, s2
	v_lshlrev_b32_e32 v1, 2, v0
	s_addc_u32 s12, s1, s3
	s_mov_b32 s15, 0
	v_mov_b32_e32 v3, s12
	v_add_co_u32_e32 v2, vcc, s9, v1
	v_addc_co_u32_e32 v3, vcc, 0, v3, vcc
	s_lshl_b32 s9, s19, 2
	s_mov_b64 s[12:13], 0
	v_mov_b32_e32 v1, 0
	v_mov_b32_e32 v4, s15
	;; [unrolled: 1-line block ×3, first 2 shown]
.LBB7_3:                                ; =>This Inner Loop Header: Depth=1
	global_load_dword v6, v[2:3], off
	v_add_co_u32_e32 v2, vcc, s9, v2
	v_add_u32_e32 v5, s19, v5
	v_addc_co_u32_e32 v3, vcc, v3, v4, vcc
	v_cmp_le_i32_e32 vcc, s8, v5
	s_or_b64 s[12:13], vcc, s[12:13]
	s_waitcnt vmcnt(0)
	v_fmac_f32_e32 v1, v6, v6
	s_andn2_b64 exec, exec, s[12:13]
	s_cbranch_execnz .LBB7_3
; %bb.4:
	s_or_b64 exec, exec, s[12:13]
.LBB7_5:
	s_or_b64 exec, exec, s[10:11]
	s_sub_i32 s15, s14, s8
	s_ashr_i32 s10, s15, 31
	s_lshr_b32 s10, s10, 30
	s_add_i32 s10, s15, s10
	s_ashr_i32 s16, s10, 2
	s_ashr_i32 s9, s8, 31
	v_cmp_gt_i32_e32 vcc, s16, v0
	s_and_saveexec_b64 s[10:11], vcc
	s_cbranch_execz .LBB7_9
; %bb.6:
	s_lshl_b64 s[12:13], s[8:9], 2
	s_add_u32 s17, s0, s2
	s_addc_u32 s21, s1, s3
	s_add_u32 s12, s17, s12
	v_lshlrev_b32_e32 v2, 4, v0
	s_addc_u32 s13, s21, s13
	v_mov_b32_e32 v3, s13
	v_add_co_u32_e32 v2, vcc, s12, v2
	v_addc_co_u32_e32 v3, vcc, 0, v3, vcc
	s_mov_b32 s20, 0
	v_add_co_u32_e32 v2, vcc, 8, v2
	v_addc_co_u32_e32 v3, vcc, 0, v3, vcc
	s_lshl_b32 s17, s19, 4
	s_mov_b64 s[12:13], 0
	v_mov_b32_e32 v4, s20
	v_mov_b32_e32 v5, v0
.LBB7_7:                                ; =>This Inner Loop Header: Depth=1
	global_load_dwordx4 v[6:9], v[2:3], off offset:-8
	v_add_co_u32_e32 v2, vcc, s17, v2
	v_add_u32_e32 v5, s19, v5
	v_addc_co_u32_e32 v3, vcc, v3, v4, vcc
	v_cmp_le_i32_e32 vcc, s16, v5
	s_or_b64 s[12:13], vcc, s[12:13]
	s_waitcnt vmcnt(0)
	v_fmac_f32_e32 v1, v6, v6
	v_fmac_f32_e32 v1, v7, v7
	;; [unrolled: 1-line block ×4, first 2 shown]
	s_andn2_b64 exec, exec, s[12:13]
	s_cbranch_execnz .LBB7_7
; %bb.8:
	s_or_b64 exec, exec, s[12:13]
.LBB7_9:
	s_or_b64 exec, exec, s[10:11]
	v_lshl_add_u32 v2, s16, 2, v0
	v_cmp_gt_i32_e32 vcc, s15, v2
	s_and_saveexec_b64 s[10:11], vcc
	s_cbranch_execz .LBB7_13
; %bb.10:
	s_lshl_b64 s[8:9], s[8:9], 2
	s_add_u32 s12, s0, s2
	s_addc_u32 s13, s1, s3
	v_ashrrev_i32_e32 v3, 31, v2
	s_add_u32 s8, s12, s8
	v_lshlrev_b64 v[4:5], 2, v[2:3]
	s_addc_u32 s9, s13, s9
	v_mov_b32_e32 v3, s9
	v_add_co_u32_e32 v4, vcc, s8, v4
	s_mov_b32 s13, 0
	v_addc_co_u32_e32 v5, vcc, v3, v5, vcc
	s_lshl_b32 s12, s19, 2
	s_mov_b64 s[8:9], 0
	v_mov_b32_e32 v3, s13
.LBB7_11:                               ; =>This Inner Loop Header: Depth=1
	global_load_dword v6, v[4:5], off
	v_add_co_u32_e32 v4, vcc, s12, v4
	v_add_u32_e32 v2, s19, v2
	v_addc_co_u32_e32 v5, vcc, v5, v3, vcc
	v_cmp_le_i32_e32 vcc, s15, v2
	s_or_b64 s[8:9], vcc, s[8:9]
	s_waitcnt vmcnt(0)
	v_fmac_f32_e32 v1, v6, v6
	s_andn2_b64 exec, exec, s[8:9]
	s_cbranch_execnz .LBB7_11
; %bb.12:
	s_or_b64 exec, exec, s[8:9]
.LBB7_13:
	s_or_b64 exec, exec, s[10:11]
	s_branch .LBB7_20
.LBB7_14:
                                        ; implicit-def: $vgpr1
	s_cbranch_execz .LBB7_20
; %bb.15:
	s_ashr_i32 s10, s14, 2
	v_cmp_gt_i32_e32 vcc, s10, v0
	v_mov_b32_e32 v1, 0
	s_and_saveexec_b64 s[8:9], vcc
	s_cbranch_execz .LBB7_19
; %bb.16:
	s_add_u32 s0, s0, s2
	v_lshlrev_b32_e32 v1, 4, v0
	s_addc_u32 s1, s1, s3
	v_mov_b32_e32 v2, s1
	v_add_co_u32_e32 v1, vcc, s0, v1
	v_addc_co_u32_e32 v3, vcc, 0, v2, vcc
	s_mov_b32 s11, 0
	v_add_co_u32_e32 v2, vcc, 8, v1
	v_addc_co_u32_e32 v3, vcc, 0, v3, vcc
	s_lshl_b32 s2, s19, 4
	s_mov_b64 s[0:1], 0
	v_mov_b32_e32 v1, 0
	v_mov_b32_e32 v4, s11
	;; [unrolled: 1-line block ×3, first 2 shown]
.LBB7_17:                               ; =>This Inner Loop Header: Depth=1
	global_load_dwordx4 v[6:9], v[2:3], off offset:-8
	v_add_co_u32_e32 v2, vcc, s2, v2
	v_add_u32_e32 v5, s19, v5
	v_addc_co_u32_e32 v3, vcc, v3, v4, vcc
	v_cmp_le_i32_e32 vcc, s10, v5
	s_or_b64 s[0:1], vcc, s[0:1]
	s_waitcnt vmcnt(0)
	v_fmac_f32_e32 v1, v6, v6
	v_fmac_f32_e32 v1, v7, v7
	;; [unrolled: 1-line block ×4, first 2 shown]
	s_andn2_b64 exec, exec, s[0:1]
	s_cbranch_execnz .LBB7_17
; %bb.18:
	s_or_b64 exec, exec, s[0:1]
.LBB7_19:
	s_or_b64 exec, exec, s[8:9]
.LBB7_20:
	v_mbcnt_lo_u32_b32 v2, -1, 0
	v_mbcnt_hi_u32_b32 v2, -1, v2
	v_and_b32_e32 v3, 63, v2
	v_cmp_ne_u32_e32 vcc, 63, v3
	v_addc_co_u32_e32 v4, vcc, 0, v2, vcc
	v_lshlrev_b32_e32 v4, 2, v4
	ds_bpermute_b32 v4, v4, v1
	v_and_b32_e32 v5, 0x3c0, v0
	v_sub_u32_e64 v5, s19, v5 clamp
	v_add_u32_e32 v6, 1, v2
	v_cmp_lt_u32_e32 vcc, v6, v5
	s_waitcnt lgkmcnt(0)
	v_add_f32_e32 v4, v1, v4
	v_cndmask_b32_e32 v1, v1, v4, vcc
	v_cmp_gt_u32_e32 vcc, 62, v3
	v_cndmask_b32_e64 v4, 0, 1, vcc
	v_lshlrev_b32_e32 v4, 1, v4
	v_add_lshl_u32 v4, v4, v2, 2
	ds_bpermute_b32 v4, v4, v1
	v_add_u32_e32 v6, 2, v2
	v_cmp_lt_u32_e32 vcc, v6, v5
	v_add_u32_e32 v6, 4, v2
	s_waitcnt lgkmcnt(0)
	v_add_f32_e32 v4, v1, v4
	v_cndmask_b32_e32 v1, v1, v4, vcc
	v_cmp_gt_u32_e32 vcc, 60, v3
	v_cndmask_b32_e64 v4, 0, 1, vcc
	v_lshlrev_b32_e32 v4, 2, v4
	v_add_lshl_u32 v4, v4, v2, 2
	ds_bpermute_b32 v4, v4, v1
	v_cmp_lt_u32_e32 vcc, v6, v5
	v_add_u32_e32 v6, 8, v2
	s_waitcnt lgkmcnt(0)
	v_add_f32_e32 v4, v1, v4
	v_cndmask_b32_e32 v1, v1, v4, vcc
	v_cmp_gt_u32_e32 vcc, 56, v3
	v_cndmask_b32_e64 v4, 0, 1, vcc
	v_lshlrev_b32_e32 v4, 3, v4
	v_add_lshl_u32 v4, v4, v2, 2
	ds_bpermute_b32 v4, v4, v1
	;; [unrolled: 10-line block ×3, first 2 shown]
	v_cmp_lt_u32_e32 vcc, v6, v5
	s_waitcnt lgkmcnt(0)
	v_add_f32_e32 v4, v1, v4
	v_cndmask_b32_e32 v1, v1, v4, vcc
	v_cmp_gt_u32_e32 vcc, 32, v3
	v_cndmask_b32_e64 v3, 0, 1, vcc
	v_lshlrev_b32_e32 v3, 5, v3
	v_add_lshl_u32 v3, v3, v2, 2
	ds_bpermute_b32 v3, v3, v1
	v_add_u32_e32 v4, 32, v2
	v_cmp_lt_u32_e32 vcc, v4, v5
	s_waitcnt lgkmcnt(0)
	v_add_f32_e32 v3, v1, v3
	v_cndmask_b32_e32 v1, v1, v3, vcc
	v_cmp_eq_u32_e32 vcc, 0, v2
	s_and_saveexec_b64 s[0:1], vcc
	s_cbranch_execz .LBB7_22
; %bb.21:
	v_lshrrev_b32_e32 v3, 4, v0
	v_and_b32_e32 v3, 60, v3
	ds_write_b32 v3, v1
.LBB7_22:
	s_or_b64 exec, exec, s[0:1]
	v_cmp_gt_u32_e32 vcc, 16, v0
	s_waitcnt lgkmcnt(0)
	s_barrier
	s_and_saveexec_b64 s[2:3], vcc
	s_cbranch_execz .LBB7_24
; %bb.23:
	v_lshlrev_b32_e32 v1, 2, v2
	ds_read_b32 v1, v1
	v_and_b32_e32 v3, 15, v2
	v_cmp_ne_u32_e32 vcc, 15, v3
	v_addc_co_u32_e32 v4, vcc, 0, v2, vcc
	v_lshlrev_b32_e32 v4, 2, v4
	s_waitcnt lgkmcnt(0)
	ds_bpermute_b32 v4, v4, v1
	s_add_i32 s0, s19, 63
	s_lshr_b32 s8, s0, 6
	v_add_u32_e32 v5, 1, v3
	v_cmp_gt_u32_e64 s[0:1], 14, v3
	v_cmp_gt_u32_e32 vcc, s8, v5
	v_cndmask_b32_e64 v5, 0, 1, s[0:1]
	s_waitcnt lgkmcnt(0)
	v_add_f32_e32 v4, v1, v4
	v_lshlrev_b32_e32 v5, 1, v5
	v_cndmask_b32_e32 v4, v1, v4, vcc
	v_add_lshl_u32 v5, v5, v2, 2
	ds_bpermute_b32 v5, v5, v4
	v_add_u32_e32 v6, 2, v3
	v_cmp_gt_u32_e64 s[0:1], s8, v6
	v_add_u32_e32 v6, 4, v3
	s_waitcnt lgkmcnt(0)
	v_add_f32_e32 v5, v4, v5
	v_cndmask_b32_e64 v4, v4, v5, s[0:1]
	v_cmp_gt_u32_e64 s[0:1], 12, v3
	v_cndmask_b32_e64 v5, 0, 1, s[0:1]
	v_lshlrev_b32_e32 v5, 2, v5
	v_add_lshl_u32 v5, v5, v2, 2
	ds_bpermute_b32 v5, v5, v4
	v_cmp_gt_u32_e64 s[0:1], s8, v6
	s_waitcnt lgkmcnt(0)
	v_add_f32_e32 v5, v4, v5
	v_cndmask_b32_e64 v4, v4, v5, s[0:1]
	v_cmp_gt_u32_e64 s[0:1], 8, v3
	v_cndmask_b32_e64 v5, 0, 1, s[0:1]
	v_lshlrev_b32_e32 v5, 3, v5
	v_add_lshl_u32 v2, v5, v2, 2
	ds_bpermute_b32 v2, v2, v4
	v_add_u32_e32 v3, 8, v3
	v_cmp_gt_u32_e64 s[0:1], s8, v3
	s_waitcnt lgkmcnt(0)
	v_add_f32_e32 v2, v4, v2
	v_cndmask_b32_e64 v2, v4, v2, s[0:1]
	v_cndmask_b32_e32 v1, v1, v2, vcc
.LBB7_24:
	s_or_b64 exec, exec, s[2:3]
	v_cmp_eq_u32_e32 vcc, 0, v0
	s_and_saveexec_b64 s[0:1], vcc
	s_cbranch_execz .LBB7_26
; %bb.25:
	v_cvt_f32_i32_e32 v2, s14
	s_load_dword s8, s[4:5], 0x28
	v_div_scale_f32 v3, s[2:3], v2, v2, v1
	v_rcp_f32_e32 v4, v3
	v_div_scale_f32 v5, vcc, v1, v2, v1
	s_mov_b32 s2, 0x800000
	v_fma_f32 v6, -v3, v4, 1.0
	v_fmac_f32_e32 v4, v6, v4
	v_mul_f32_e32 v6, v5, v4
	v_fma_f32 v7, -v3, v6, v5
	v_fmac_f32_e32 v6, v7, v4
	v_fma_f32 v3, -v3, v6, v5
	v_div_fmas_f32 v3, v3, v4, v6
	v_div_fixup_f32 v1, v3, v2, v1
	s_waitcnt lgkmcnt(0)
	v_add_f32_e32 v1, s8, v1
	v_mul_f32_e32 v2, 0x4b800000, v1
	v_cmp_gt_f32_e32 vcc, s2, v1
	v_cndmask_b32_e32 v1, v1, v2, vcc
	v_rsq_f32_e32 v1, v1
	v_mul_f32_e32 v2, 0x45800000, v1
	v_cndmask_b32_e32 v1, v1, v2, vcc
	v_mov_b32_e32 v2, 0
	ds_write_b32 v2, v1 offset:64
.LBB7_26:
	s_or_b64 exec, exec, s[0:1]
	s_ashr_i32 s0, s14, 31
	s_lshr_b32 s0, s0, 30
	s_add_i32 s0, s14, s0
	s_ashr_i32 s20, s0, 2
	v_cmp_gt_i32_e32 vcc, s20, v0
	s_waitcnt lgkmcnt(0)
	s_barrier
	s_and_saveexec_b64 s[0:1], vcc
	s_cbranch_execz .LBB7_69
; %bb.27:
	s_load_dwordx4 s[8:11], s[4:5], 0x18
	s_load_dwordx2 s[2:3], s[4:5], 0x0
	v_mov_b32_e32 v11, 0
	ds_read_b32 v1, v11 offset:64
	s_mul_i32 s6, s6, s14
	s_waitcnt lgkmcnt(0)
	s_load_dword s4, s[10:11], 0x0
	v_lshlrev_b32_e32 v10, 4, v0
	s_lshl_b32 s21, s19, 2
	v_lshl_add_u32 v16, v0, 2, s6
	s_mov_b32 s22, 0
	s_waitcnt lgkmcnt(0)
	v_div_scale_f32 v2, s[0:1], s4, s4, 1.0
	v_rcp_f32_e32 v3, v2
	v_div_scale_f32 v4, vcc, 1.0, s4, 1.0
	s_lshl_b32 s23, s19, 4
	v_fma_f32 v5, -v2, v3, 1.0
	v_fmac_f32_e32 v3, v5, v3
	v_mul_f32_e32 v5, v4, v3
	v_fma_f32 v6, -v2, v5, v4
	v_fmac_f32_e32 v5, v6, v3
	v_fma_f32 v2, -v2, v5, v4
	v_div_fmas_f32 v2, v2, v3, v5
	v_div_fixup_f32 v17, v2, s4, 1.0
	s_mov_b64 s[4:5], 0
	v_mov_b32_e32 v18, s7
	v_mov_b32_e32 v19, s9
	s_movk_i32 s9, 0x7f
	s_mov_b64 s[6:7], 0x7f800000
	s_mov_b64 s[10:11], 0x43700001
	s_movk_i32 s24, 0x78
	s_movk_i32 s25, 0x80
	v_mov_b32_e32 v20, 0x77
	v_mov_b32_e32 v21, 0xffffff8a
	v_pk_mov_b32 v[12:13], v[10:11], v[10:11] op_sel:[0,1]
	s_branch .LBB7_32
.LBB7_28:                               ;   in Loop: Header=BB7_32 Depth=1
	s_or_b64 exec, exec, s[0:1]
	v_lshrrev_b64 v[2:3], 20, v[2:3]
	v_cmp_gt_i32_e32 vcc, 16, v5
	v_and_b32_sdwa v4, v4, s25 dst_sel:DWORD dst_unused:UNUSED_PAD src0_sel:BYTE_3 src1_sel:DWORD
	v_min_i32_e32 v6, 15, v5
	v_cndmask_b32_e32 v3, 0, v3, vcc
	v_cndmask_b32_e32 v2, 7, v2, vcc
	v_cmp_eq_u32_e32 vcc, 0, v5
	v_cmp_eq_u64_e64 s[0:1], 0, v[2:3]
	v_lshl_or_b32 v3, v6, 3, v4
	v_and_or_b32 v2, v2, 7, v3
	s_and_b64 s[0:1], vcc, s[0:1]
	v_cndmask_b32_e64 v2, v2, 0, s[0:1]
.LBB7_29:                               ;   in Loop: Header=BB7_32 Depth=1
	s_or_b64 exec, exec, s[16:17]
.LBB7_30:                               ;   in Loop: Header=BB7_32 Depth=1
	s_andn2_saveexec_b64 s[0:1], s[14:15]
	s_or_b64 exec, exec, s[0:1]
.LBB7_31:                               ;   in Loop: Header=BB7_32 Depth=1
	s_andn2_saveexec_b64 s[0:1], s[12:13]
	s_or_b64 exec, exec, s[0:1]
	v_add_u32_e32 v0, s19, v0
	v_add_u32_e32 v3, 3, v16
	v_cmp_le_i32_e32 vcc, s20, v0
	global_store_byte v3, v2, s[2:3]
	v_mov_b32_e32 v2, s22
	s_or_b64 s[4:5], vcc, s[4:5]
	v_add_co_u32_e32 v12, vcc, s23, v12
	v_add_u32_e32 v16, s21, v16
	v_addc_co_u32_e32 v13, vcc, v13, v2, vcc
	s_andn2_b64 exec, exec, s[4:5]
	s_cbranch_execz .LBB7_69
.LBB7_32:                               ; =>This Inner Loop Header: Depth=1
	v_add_co_u32_e32 v2, vcc, s18, v12
	v_addc_co_u32_e32 v3, vcc, v18, v13, vcc
	v_add_co_u32_e32 v6, vcc, s8, v12
	global_load_dwordx4 v[2:5], v[2:3], off
	v_addc_co_u32_e32 v7, vcc, v19, v13, vcc
	global_load_dwordx4 v[6:9], v[6:7], off
	s_waitcnt vmcnt(1)
	v_mul_f32_e32 v2, v2, v1
	s_waitcnt vmcnt(0)
	v_mul_f32_e32 v2, v2, v6
	v_mul_f32_e32 v2, v17, v2
	v_min_f32_e32 v2, 0x43600000, v2
	v_max_f32_e32 v2, 0xc3600000, v2
	v_and_b32_e32 v10, 0x7f800000, v2
	v_or_b32_sdwa v6, v2, s9 dst_sel:DWORD dst_unused:UNUSED_PAD src0_sel:BYTE_3 src1_sel:DWORD
	v_cmp_ne_u64_e32 vcc, s[6:7], v[10:11]
	s_and_saveexec_b64 s[0:1], vcc
	s_xor_b64 s[12:13], exec, s[0:1]
	s_cbranch_execz .LBB7_42
; %bb.33:                               ;   in Loop: Header=BB7_32 Depth=1
	v_and_b32_e32 v10, 0x7fffffff, v2
	v_cmp_gt_u64_e32 vcc, s[10:11], v[10:11]
	s_and_saveexec_b64 s[0:1], vcc
	s_xor_b64 s[14:15], exec, s[0:1]
	s_cbranch_execz .LBB7_41
; %bb.34:                               ;   in Loop: Header=BB7_32 Depth=1
	v_cmp_ne_u32_e32 vcc, 0, v2
	v_mov_b32_e32 v6, 0
	s_and_saveexec_b64 s[16:17], vcc
	s_cbranch_execz .LBB7_40
; %bb.35:                               ;   in Loop: Header=BB7_32 Depth=1
	v_bfe_u32 v10, v2, 23, 8
	v_and_b32_e32 v6, 0x7fffff, v2
	v_sub_u32_e64 v14, s24, v10 clamp
	v_cmp_eq_u32_e32 vcc, 0, v10
	v_or_b32_e32 v15, 0x800000, v6
	v_cndmask_b32_e32 v25, v14, v20, vcc
	v_add_u32_e32 v24, 0xffffff89, v10
	v_cndmask_b32_e32 v10, v15, v6, vcc
	v_add_u32_e32 v6, 20, v25
	v_lshlrev_b64 v[14:15], v6, -1
	v_not_b32_e32 v6, v14
	v_and_b32_e32 v14, v10, v6
	v_add_u32_e32 v6, 19, v25
	v_mov_b32_e32 v15, v11
	v_lshlrev_b64 v[22:23], v6, 1
	v_cmp_eq_u64_e64 s[0:1], v[14:15], v[22:23]
	v_lshrrev_b64 v[14:15], v25, v[10:11]
	v_cndmask_b32_e32 v6, v24, v21, vcc
	v_lshrrev_b32_e32 v10, 23, v14
	v_add3_u32 v22, v6, v25, v10
	v_and_b32_e32 v10, 0x100000, v14
	v_cmp_eq_u64_e32 vcc, 0, v[10:11]
	s_and_b64 vcc, vcc, s[0:1]
	v_subbrev_co_u32_e32 v6, vcc, 0, v14, vcc
	v_and_b32_e32 v6, 0xfffff, v6
	v_add_co_u32_e32 v14, vcc, v6, v14
	v_add_u32_e32 v23, -1, v22
	v_addc_co_u32_e32 v15, vcc, 0, v15, vcc
	v_cmp_ne_u32_e32 vcc, 0, v23
                                        ; implicit-def: $vgpr6
	s_and_saveexec_b64 s[0:1], vcc
	s_xor_b64 s[0:1], exec, s[0:1]
; %bb.36:                               ;   in Loop: Header=BB7_32 Depth=1
	v_and_b32_e32 v10, 0x1000000, v14
	v_cmp_eq_u64_e32 vcc, 0, v[10:11]
	v_bfe_u32 v10, v14, 24, 1
	v_cndmask_b32_e32 v6, v22, v23, vcc
	v_lshrrev_b64 v[14:15], v10, v[14:15]
; %bb.37:                               ;   in Loop: Header=BB7_32 Depth=1
	s_andn2_saveexec_b64 s[0:1], s[0:1]
; %bb.38:                               ;   in Loop: Header=BB7_32 Depth=1
	v_bfe_u32 v6, v14, 23, 1
; %bb.39:                               ;   in Loop: Header=BB7_32 Depth=1
	s_or_b64 exec, exec, s[0:1]
	v_lshrrev_b64 v[14:15], 20, v[14:15]
	v_cmp_gt_i32_e32 vcc, 16, v6
	v_and_b32_sdwa v2, v2, s25 dst_sel:DWORD dst_unused:UNUSED_PAD src0_sel:BYTE_3 src1_sel:DWORD
	v_min_i32_e32 v10, 15, v6
	v_cndmask_b32_e32 v15, 0, v15, vcc
	v_cndmask_b32_e32 v14, 7, v14, vcc
	v_cmp_eq_u32_e32 vcc, 0, v6
	v_cmp_eq_u64_e64 s[0:1], 0, v[14:15]
	v_lshl_or_b32 v2, v10, 3, v2
	v_and_or_b32 v2, v14, 7, v2
	s_and_b64 s[0:1], vcc, s[0:1]
	v_cndmask_b32_e64 v6, v2, 0, s[0:1]
.LBB7_40:                               ;   in Loop: Header=BB7_32 Depth=1
	s_or_b64 exec, exec, s[16:17]
.LBB7_41:                               ;   in Loop: Header=BB7_32 Depth=1
	s_andn2_saveexec_b64 s[0:1], s[14:15]
	s_or_b64 exec, exec, s[0:1]
.LBB7_42:                               ;   in Loop: Header=BB7_32 Depth=1
	s_andn2_saveexec_b64 s[0:1], s[12:13]
	s_or_b64 exec, exec, s[0:1]
	v_mul_f32_e32 v2, v3, v1
	v_mul_f32_e32 v2, v2, v7
	;; [unrolled: 1-line block ×3, first 2 shown]
	v_min_f32_e32 v2, 0x43600000, v2
	global_store_byte v16, v6, s[2:3]
	v_max_f32_e32 v6, 0xc3600000, v2
	v_and_b32_e32 v10, 0x7f800000, v6
	v_or_b32_sdwa v2, v6, s9 dst_sel:DWORD dst_unused:UNUSED_PAD src0_sel:BYTE_3 src1_sel:DWORD
	v_cmp_ne_u64_e32 vcc, s[6:7], v[10:11]
	s_and_saveexec_b64 s[0:1], vcc
	s_xor_b64 s[12:13], exec, s[0:1]
	s_cbranch_execz .LBB7_52
; %bb.43:                               ;   in Loop: Header=BB7_32 Depth=1
	v_and_b32_e32 v10, 0x7fffffff, v6
	v_cmp_gt_u64_e32 vcc, s[10:11], v[10:11]
	s_and_saveexec_b64 s[0:1], vcc
	s_xor_b64 s[14:15], exec, s[0:1]
	s_cbranch_execz .LBB7_51
; %bb.44:                               ;   in Loop: Header=BB7_32 Depth=1
	v_cmp_ne_u32_e32 vcc, 0, v6
	v_mov_b32_e32 v2, 0
	s_and_saveexec_b64 s[16:17], vcc
	s_cbranch_execz .LBB7_50
; %bb.45:                               ;   in Loop: Header=BB7_32 Depth=1
	v_bfe_u32 v3, v6, 23, 8
	v_and_b32_e32 v2, 0x7fffff, v6
	v_sub_u32_e64 v7, s24, v3 clamp
	v_cmp_eq_u32_e32 vcc, 0, v3
	v_or_b32_e32 v10, 0x800000, v2
	v_cndmask_b32_e32 v7, v7, v20, vcc
	v_cndmask_b32_e32 v10, v10, v2, vcc
	v_add_u32_e32 v2, 20, v7
	v_add_u32_e32 v22, 0xffffff89, v3
	v_lshlrev_b64 v[2:3], v2, -1
	v_not_b32_e32 v2, v2
	v_add_u32_e32 v14, 19, v7
	v_and_b32_e32 v2, v10, v2
	v_mov_b32_e32 v3, v11
	v_lshlrev_b64 v[14:15], v14, 1
	v_cmp_eq_u64_e64 s[0:1], v[2:3], v[14:15]
	v_lshrrev_b64 v[2:3], v7, v[10:11]
	v_cndmask_b32_e32 v10, v22, v21, vcc
	v_lshrrev_b32_e32 v14, 23, v2
	v_add3_u32 v14, v10, v7, v14
	v_and_b32_e32 v10, 0x100000, v2
	v_cmp_eq_u64_e32 vcc, 0, v[10:11]
	s_and_b64 vcc, vcc, s[0:1]
	v_subbrev_co_u32_e32 v7, vcc, 0, v2, vcc
	v_and_b32_e32 v7, 0xfffff, v7
	v_add_co_u32_e32 v2, vcc, v7, v2
	v_add_u32_e32 v15, -1, v14
	v_addc_co_u32_e32 v3, vcc, 0, v3, vcc
	v_cmp_ne_u32_e32 vcc, 0, v15
                                        ; implicit-def: $vgpr7
	s_and_saveexec_b64 s[0:1], vcc
	s_xor_b64 s[0:1], exec, s[0:1]
; %bb.46:                               ;   in Loop: Header=BB7_32 Depth=1
	v_and_b32_e32 v10, 0x1000000, v2
	v_cmp_eq_u64_e32 vcc, 0, v[10:11]
	v_bfe_u32 v10, v2, 24, 1
	v_cndmask_b32_e32 v7, v14, v15, vcc
	v_lshrrev_b64 v[2:3], v10, v[2:3]
; %bb.47:                               ;   in Loop: Header=BB7_32 Depth=1
	s_andn2_saveexec_b64 s[0:1], s[0:1]
; %bb.48:                               ;   in Loop: Header=BB7_32 Depth=1
	v_bfe_u32 v7, v2, 23, 1
; %bb.49:                               ;   in Loop: Header=BB7_32 Depth=1
	s_or_b64 exec, exec, s[0:1]
	v_lshrrev_b64 v[2:3], 20, v[2:3]
	v_cmp_gt_i32_e32 vcc, 16, v7
	v_and_b32_sdwa v6, v6, s25 dst_sel:DWORD dst_unused:UNUSED_PAD src0_sel:BYTE_3 src1_sel:DWORD
	v_min_i32_e32 v10, 15, v7
	v_cndmask_b32_e32 v3, 0, v3, vcc
	v_cndmask_b32_e32 v2, 7, v2, vcc
	v_cmp_eq_u32_e32 vcc, 0, v7
	v_cmp_eq_u64_e64 s[0:1], 0, v[2:3]
	v_lshl_or_b32 v3, v10, 3, v6
	v_and_or_b32 v2, v2, 7, v3
	s_and_b64 s[0:1], vcc, s[0:1]
	v_cndmask_b32_e64 v2, v2, 0, s[0:1]
.LBB7_50:                               ;   in Loop: Header=BB7_32 Depth=1
	s_or_b64 exec, exec, s[16:17]
.LBB7_51:                               ;   in Loop: Header=BB7_32 Depth=1
	s_andn2_saveexec_b64 s[0:1], s[14:15]
	s_or_b64 exec, exec, s[0:1]
.LBB7_52:                               ;   in Loop: Header=BB7_32 Depth=1
	s_andn2_saveexec_b64 s[0:1], s[12:13]
	s_or_b64 exec, exec, s[0:1]
	v_add_u32_e32 v3, 1, v16
	global_store_byte v3, v2, s[2:3]
	v_mul_f32_e32 v2, v4, v1
	v_mul_f32_e32 v2, v2, v8
	;; [unrolled: 1-line block ×3, first 2 shown]
	v_min_f32_e32 v2, 0x43600000, v2
	v_max_f32_e32 v4, 0xc3600000, v2
	v_and_b32_e32 v10, 0x7f800000, v4
	v_or_b32_sdwa v2, v4, s9 dst_sel:DWORD dst_unused:UNUSED_PAD src0_sel:BYTE_3 src1_sel:DWORD
	v_cmp_ne_u64_e32 vcc, s[6:7], v[10:11]
	s_and_saveexec_b64 s[0:1], vcc
	s_xor_b64 s[12:13], exec, s[0:1]
	s_cbranch_execz .LBB7_62
; %bb.53:                               ;   in Loop: Header=BB7_32 Depth=1
	v_and_b32_e32 v10, 0x7fffffff, v4
	v_cmp_gt_u64_e32 vcc, s[10:11], v[10:11]
	s_and_saveexec_b64 s[0:1], vcc
	s_xor_b64 s[14:15], exec, s[0:1]
	s_cbranch_execz .LBB7_61
; %bb.54:                               ;   in Loop: Header=BB7_32 Depth=1
	v_cmp_ne_u32_e32 vcc, 0, v4
	v_mov_b32_e32 v2, 0
	s_and_saveexec_b64 s[16:17], vcc
	s_cbranch_execz .LBB7_60
; %bb.55:                               ;   in Loop: Header=BB7_32 Depth=1
	v_bfe_u32 v3, v4, 23, 8
	v_and_b32_e32 v2, 0x7fffff, v4
	v_sub_u32_e64 v6, s24, v3 clamp
	v_cmp_eq_u32_e32 vcc, 0, v3
	v_or_b32_e32 v7, 0x800000, v2
	v_cndmask_b32_e32 v14, v6, v20, vcc
	v_cndmask_b32_e32 v10, v7, v2, vcc
	v_add_u32_e32 v2, 20, v14
	v_add_u32_e32 v8, 0xffffff89, v3
	v_lshlrev_b64 v[2:3], v2, -1
	v_not_b32_e32 v2, v2
	v_add_u32_e32 v6, 19, v14
	v_and_b32_e32 v2, v10, v2
	v_mov_b32_e32 v3, v11
	v_lshlrev_b64 v[6:7], v6, 1
	v_cmp_eq_u64_e64 s[0:1], v[2:3], v[6:7]
	v_lshrrev_b64 v[2:3], v14, v[10:11]
	v_and_b32_e32 v10, 0x100000, v2
	v_cndmask_b32_e32 v6, v8, v21, vcc
	v_cmp_eq_u64_e32 vcc, 0, v[10:11]
	v_lshrrev_b32_e32 v7, 23, v2
	s_and_b64 vcc, vcc, s[0:1]
	v_add3_u32 v7, v6, v14, v7
	v_subbrev_co_u32_e32 v6, vcc, 0, v2, vcc
	v_and_b32_e32 v6, 0xfffff, v6
	v_add_co_u32_e32 v2, vcc, v6, v2
	v_add_u32_e32 v8, -1, v7
	v_addc_co_u32_e32 v3, vcc, 0, v3, vcc
	v_cmp_ne_u32_e32 vcc, 0, v8
                                        ; implicit-def: $vgpr6
	s_and_saveexec_b64 s[0:1], vcc
	s_xor_b64 s[0:1], exec, s[0:1]
; %bb.56:                               ;   in Loop: Header=BB7_32 Depth=1
	v_and_b32_e32 v10, 0x1000000, v2
	v_cmp_eq_u64_e32 vcc, 0, v[10:11]
	v_cndmask_b32_e32 v6, v7, v8, vcc
	v_bfe_u32 v7, v2, 24, 1
	v_lshrrev_b64 v[2:3], v7, v[2:3]
; %bb.57:                               ;   in Loop: Header=BB7_32 Depth=1
	s_andn2_saveexec_b64 s[0:1], s[0:1]
; %bb.58:                               ;   in Loop: Header=BB7_32 Depth=1
	v_bfe_u32 v6, v2, 23, 1
; %bb.59:                               ;   in Loop: Header=BB7_32 Depth=1
	s_or_b64 exec, exec, s[0:1]
	v_lshrrev_b64 v[2:3], 20, v[2:3]
	v_cmp_gt_i32_e32 vcc, 16, v6
	v_and_b32_sdwa v4, v4, s25 dst_sel:DWORD dst_unused:UNUSED_PAD src0_sel:BYTE_3 src1_sel:DWORD
	v_min_i32_e32 v7, 15, v6
	v_cndmask_b32_e32 v3, 0, v3, vcc
	v_cndmask_b32_e32 v2, 7, v2, vcc
	v_cmp_eq_u32_e32 vcc, 0, v6
	v_cmp_eq_u64_e64 s[0:1], 0, v[2:3]
	v_lshl_or_b32 v3, v7, 3, v4
	v_and_or_b32 v2, v2, 7, v3
	s_and_b64 s[0:1], vcc, s[0:1]
	v_cndmask_b32_e64 v2, v2, 0, s[0:1]
.LBB7_60:                               ;   in Loop: Header=BB7_32 Depth=1
	s_or_b64 exec, exec, s[16:17]
.LBB7_61:                               ;   in Loop: Header=BB7_32 Depth=1
	s_andn2_saveexec_b64 s[0:1], s[14:15]
	s_or_b64 exec, exec, s[0:1]
.LBB7_62:                               ;   in Loop: Header=BB7_32 Depth=1
	s_andn2_saveexec_b64 s[0:1], s[12:13]
	s_or_b64 exec, exec, s[0:1]
	v_add_u32_e32 v3, 2, v16
	global_store_byte v3, v2, s[2:3]
	v_mul_f32_e32 v2, v5, v1
	v_mul_f32_e32 v2, v2, v9
	;; [unrolled: 1-line block ×3, first 2 shown]
	v_min_f32_e32 v2, 0x43600000, v2
	v_max_f32_e32 v4, 0xc3600000, v2
	v_and_b32_e32 v10, 0x7f800000, v4
	v_or_b32_sdwa v2, v4, s9 dst_sel:DWORD dst_unused:UNUSED_PAD src0_sel:BYTE_3 src1_sel:DWORD
	v_cmp_ne_u64_e32 vcc, s[6:7], v[10:11]
	s_and_saveexec_b64 s[0:1], vcc
	s_xor_b64 s[12:13], exec, s[0:1]
	s_cbranch_execz .LBB7_31
; %bb.63:                               ;   in Loop: Header=BB7_32 Depth=1
	v_and_b32_e32 v10, 0x7fffffff, v4
	v_cmp_gt_u64_e32 vcc, s[10:11], v[10:11]
	s_and_saveexec_b64 s[0:1], vcc
	s_xor_b64 s[14:15], exec, s[0:1]
	s_cbranch_execz .LBB7_30
; %bb.64:                               ;   in Loop: Header=BB7_32 Depth=1
	v_cmp_ne_u32_e32 vcc, 0, v4
	v_mov_b32_e32 v2, 0
	s_and_saveexec_b64 s[16:17], vcc
	s_cbranch_execz .LBB7_29
; %bb.65:                               ;   in Loop: Header=BB7_32 Depth=1
	v_bfe_u32 v3, v4, 23, 8
	v_and_b32_e32 v2, 0x7fffff, v4
	v_sub_u32_e64 v5, s24, v3 clamp
	v_cmp_eq_u32_e32 vcc, 0, v3
	v_or_b32_e32 v6, 0x800000, v2
	v_cndmask_b32_e32 v5, v5, v20, vcc
	v_cndmask_b32_e32 v10, v6, v2, vcc
	v_add_u32_e32 v2, 20, v5
	v_add_u32_e32 v8, 0xffffff89, v3
	v_lshlrev_b64 v[2:3], v2, -1
	v_not_b32_e32 v2, v2
	v_add_u32_e32 v6, 19, v5
	v_and_b32_e32 v2, v10, v2
	v_mov_b32_e32 v3, v11
	v_lshlrev_b64 v[6:7], v6, 1
	v_cmp_eq_u64_e64 s[0:1], v[2:3], v[6:7]
	v_lshrrev_b64 v[2:3], v5, v[10:11]
	v_and_b32_e32 v10, 0x100000, v2
	v_cndmask_b32_e32 v6, v8, v21, vcc
	v_cmp_eq_u64_e32 vcc, 0, v[10:11]
	v_lshrrev_b32_e32 v7, 23, v2
	s_and_b64 vcc, vcc, s[0:1]
	v_add3_u32 v6, v6, v5, v7
	v_subbrev_co_u32_e32 v5, vcc, 0, v2, vcc
	v_and_b32_e32 v5, 0xfffff, v5
	v_add_co_u32_e32 v2, vcc, v5, v2
	v_add_u32_e32 v7, -1, v6
	v_addc_co_u32_e32 v3, vcc, 0, v3, vcc
	v_cmp_ne_u32_e32 vcc, 0, v7
                                        ; implicit-def: $vgpr5
	s_and_saveexec_b64 s[0:1], vcc
	s_xor_b64 s[0:1], exec, s[0:1]
; %bb.66:                               ;   in Loop: Header=BB7_32 Depth=1
	v_and_b32_e32 v10, 0x1000000, v2
	v_cmp_eq_u64_e32 vcc, 0, v[10:11]
	v_cndmask_b32_e32 v5, v6, v7, vcc
	v_bfe_u32 v6, v2, 24, 1
	v_lshrrev_b64 v[2:3], v6, v[2:3]
; %bb.67:                               ;   in Loop: Header=BB7_32 Depth=1
	s_andn2_saveexec_b64 s[0:1], s[0:1]
	s_cbranch_execz .LBB7_28
; %bb.68:                               ;   in Loop: Header=BB7_32 Depth=1
	v_bfe_u32 v5, v2, 23, 1
	s_branch .LBB7_28
.LBB7_69:
	s_endpgm
	.section	.rodata,"a",@progbits
	.p2align	6, 0x0
	.amdhsa_kernel _ZN4vllm32rms_norm_static_fp8_quant_kernelIfN3c1015Float8_e4m3fnuzELi4EEEvPT0_PKT_iS7_PKffii
		.amdhsa_group_segment_fixed_size 68
		.amdhsa_private_segment_fixed_size 0
		.amdhsa_kernarg_size 312
		.amdhsa_user_sgpr_count 6
		.amdhsa_user_sgpr_private_segment_buffer 1
		.amdhsa_user_sgpr_dispatch_ptr 0
		.amdhsa_user_sgpr_queue_ptr 0
		.amdhsa_user_sgpr_kernarg_segment_ptr 1
		.amdhsa_user_sgpr_dispatch_id 0
		.amdhsa_user_sgpr_flat_scratch_init 0
		.amdhsa_user_sgpr_kernarg_preload_length 0
		.amdhsa_user_sgpr_kernarg_preload_offset 0
		.amdhsa_user_sgpr_private_segment_size 0
		.amdhsa_uses_dynamic_stack 0
		.amdhsa_system_sgpr_private_segment_wavefront_offset 0
		.amdhsa_system_sgpr_workgroup_id_x 1
		.amdhsa_system_sgpr_workgroup_id_y 0
		.amdhsa_system_sgpr_workgroup_id_z 0
		.amdhsa_system_sgpr_workgroup_info 0
		.amdhsa_system_vgpr_workitem_id 0
		.amdhsa_next_free_vgpr 26
		.amdhsa_next_free_sgpr 26
		.amdhsa_accum_offset 28
		.amdhsa_reserve_vcc 1
		.amdhsa_reserve_flat_scratch 0
		.amdhsa_float_round_mode_32 0
		.amdhsa_float_round_mode_16_64 0
		.amdhsa_float_denorm_mode_32 3
		.amdhsa_float_denorm_mode_16_64 3
		.amdhsa_dx10_clamp 1
		.amdhsa_ieee_mode 1
		.amdhsa_fp16_overflow 0
		.amdhsa_tg_split 0
		.amdhsa_exception_fp_ieee_invalid_op 0
		.amdhsa_exception_fp_denorm_src 0
		.amdhsa_exception_fp_ieee_div_zero 0
		.amdhsa_exception_fp_ieee_overflow 0
		.amdhsa_exception_fp_ieee_underflow 0
		.amdhsa_exception_fp_ieee_inexact 0
		.amdhsa_exception_int_div_zero 0
	.end_amdhsa_kernel
	.section	.text._ZN4vllm32rms_norm_static_fp8_quant_kernelIfN3c1015Float8_e4m3fnuzELi4EEEvPT0_PKT_iS7_PKffii,"axG",@progbits,_ZN4vllm32rms_norm_static_fp8_quant_kernelIfN3c1015Float8_e4m3fnuzELi4EEEvPT0_PKT_iS7_PKffii,comdat
.Lfunc_end7:
	.size	_ZN4vllm32rms_norm_static_fp8_quant_kernelIfN3c1015Float8_e4m3fnuzELi4EEEvPT0_PKT_iS7_PKffii, .Lfunc_end7-_ZN4vllm32rms_norm_static_fp8_quant_kernelIfN3c1015Float8_e4m3fnuzELi4EEEvPT0_PKT_iS7_PKffii
                                        ; -- End function
	.section	.AMDGPU.csdata,"",@progbits
; Kernel info:
; codeLenInByte = 3520
; NumSgprs: 30
; NumVgprs: 26
; NumAgprs: 0
; TotalNumVgprs: 26
; ScratchSize: 0
; MemoryBound: 0
; FloatMode: 240
; IeeeMode: 1
; LDSByteSize: 68 bytes/workgroup (compile time only)
; SGPRBlocks: 3
; VGPRBlocks: 3
; NumSGPRsForWavesPerEU: 30
; NumVGPRsForWavesPerEU: 26
; AccumOffset: 28
; Occupancy: 8
; WaveLimiterHint : 0
; COMPUTE_PGM_RSRC2:SCRATCH_EN: 0
; COMPUTE_PGM_RSRC2:USER_SGPR: 6
; COMPUTE_PGM_RSRC2:TRAP_HANDLER: 0
; COMPUTE_PGM_RSRC2:TGID_X_EN: 1
; COMPUTE_PGM_RSRC2:TGID_Y_EN: 0
; COMPUTE_PGM_RSRC2:TGID_Z_EN: 0
; COMPUTE_PGM_RSRC2:TIDIG_COMP_CNT: 0
; COMPUTE_PGM_RSRC3_GFX90A:ACCUM_OFFSET: 6
; COMPUTE_PGM_RSRC3_GFX90A:TG_SPLIT: 0
	.section	.text._ZN4vllm32rms_norm_static_fp8_quant_kernelIfN3c1015Float8_e4m3fnuzELi2EEEvPT0_PKT_iS7_PKffii,"axG",@progbits,_ZN4vllm32rms_norm_static_fp8_quant_kernelIfN3c1015Float8_e4m3fnuzELi2EEEvPT0_PKT_iS7_PKffii,comdat
	.protected	_ZN4vllm32rms_norm_static_fp8_quant_kernelIfN3c1015Float8_e4m3fnuzELi2EEEvPT0_PKT_iS7_PKffii ; -- Begin function _ZN4vllm32rms_norm_static_fp8_quant_kernelIfN3c1015Float8_e4m3fnuzELi2EEEvPT0_PKT_iS7_PKffii
	.globl	_ZN4vllm32rms_norm_static_fp8_quant_kernelIfN3c1015Float8_e4m3fnuzELi2EEEvPT0_PKT_iS7_PKffii
	.p2align	8
	.type	_ZN4vllm32rms_norm_static_fp8_quant_kernelIfN3c1015Float8_e4m3fnuzELi2EEEvPT0_PKT_iS7_PKffii,@function
_ZN4vllm32rms_norm_static_fp8_quant_kernelIfN3c1015Float8_e4m3fnuzELi2EEEvPT0_PKT_iS7_PKffii: ; @_ZN4vllm32rms_norm_static_fp8_quant_kernelIfN3c1015Float8_e4m3fnuzELi2EEEvPT0_PKT_iS7_PKffii
; %bb.0:
	s_load_dword s2, s[4:5], 0x10
	s_load_dwordx2 s[0:1], s[4:5], 0x8
	s_load_dword s7, s[4:5], 0x30
	s_load_dword s12, s[4:5], 0x44
	s_mov_b32 s11, 0
	s_waitcnt lgkmcnt(0)
	s_mul_i32 s10, s6, s2
	s_lshl_b64 s[8:9], s[10:11], 2
	s_add_u32 s2, s0, s8
	s_addc_u32 s3, s1, s9
	s_and_b32 s20, s12, 0xffff
	s_and_b32 s10, s2, 7
	s_cmp_lg_u64 s[10:11], 0
	s_cselect_b64 s[10:11], -1, 0
	s_bitcmp1_b32 s7, 0
	s_cselect_b64 s[12:13], -1, 0
	s_or_b64 s[10:11], s[10:11], s[12:13]
	s_and_b64 vcc, exec, s[10:11]
	s_cbranch_vccz .LBB8_13
; %bb.1:
	s_sub_i32 s10, 0, s2
	s_bfe_u32 s10, s10, 0x10002
	s_min_i32 s10, s10, s7
	v_cmp_gt_i32_e32 vcc, s10, v0
	v_mov_b32_e32 v1, 0
	s_and_saveexec_b64 s[12:13], vcc
	s_cbranch_execz .LBB8_4
; %bb.2:
	s_lshl_b32 s11, s20, 2
	s_mov_b32 s16, 0
	v_mov_b32_e32 v1, 0
	s_mov_b64 s[14:15], s[2:3]
.LBB8_3:                                ; =>This Inner Loop Header: Depth=1
	s_load_dword s17, s[14:15], 0x0
	s_add_i32 s16, s16, s20
	s_add_u32 s14, s14, s11
	s_addc_u32 s15, s15, 0
	s_cmp_ge_i32 s16, s10
	s_waitcnt lgkmcnt(0)
	v_fmac_f32_e64 v1, s17, s17
	s_cbranch_scc0 .LBB8_3
.LBB8_4:
	s_or_b64 exec, exec, s[12:13]
	s_sub_i32 s16, s7, s10
	s_lshr_b32 s12, s16, 31
	s_add_i32 s12, s16, s12
	s_ashr_i32 s17, s12, 1
	s_ashr_i32 s11, s10, 31
	v_cmp_gt_i32_e32 vcc, s17, v0
	s_and_saveexec_b64 s[12:13], vcc
	s_cbranch_execz .LBB8_8
; %bb.5:
	s_lshl_b64 s[14:15], s[10:11], 2
	s_add_u32 s18, s0, s8
	s_addc_u32 s21, s1, s9
	s_add_u32 s14, s18, s14
	v_lshlrev_b32_e32 v2, 3, v0
	s_addc_u32 s15, s21, s15
	v_mov_b32_e32 v3, s15
	v_add_co_u32_e32 v2, vcc, s14, v2
	v_addc_co_u32_e32 v3, vcc, 0, v3, vcc
	s_mov_b32 s19, 0
	v_add_co_u32_e32 v2, vcc, 4, v2
	v_addc_co_u32_e32 v3, vcc, 0, v3, vcc
	s_lshl_b32 s18, s20, 3
	s_mov_b64 s[14:15], 0
	v_mov_b32_e32 v4, s19
	v_mov_b32_e32 v5, v0
.LBB8_6:                                ; =>This Inner Loop Header: Depth=1
	global_load_dwordx2 v[6:7], v[2:3], off offset:-4
	v_add_co_u32_e32 v2, vcc, s18, v2
	v_add_u32_e32 v5, s20, v5
	v_addc_co_u32_e32 v3, vcc, v3, v4, vcc
	v_cmp_le_i32_e32 vcc, s17, v5
	s_or_b64 s[14:15], vcc, s[14:15]
	s_waitcnt vmcnt(0)
	v_fmac_f32_e32 v1, v6, v6
	v_fmac_f32_e32 v1, v7, v7
	s_andn2_b64 exec, exec, s[14:15]
	s_cbranch_execnz .LBB8_6
; %bb.7:
	s_or_b64 exec, exec, s[14:15]
.LBB8_8:
	s_or_b64 exec, exec, s[12:13]
	v_lshl_add_u32 v2, s17, 1, v0
	v_cmp_gt_i32_e32 vcc, s16, v2
	s_and_saveexec_b64 s[12:13], vcc
	s_cbranch_execz .LBB8_12
; %bb.9:
	s_lshl_b64 s[10:11], s[10:11], 2
	s_add_u32 s14, s0, s8
	s_addc_u32 s15, s1, s9
	v_ashrrev_i32_e32 v3, 31, v2
	s_add_u32 s10, s14, s10
	v_lshlrev_b64 v[4:5], 2, v[2:3]
	s_addc_u32 s11, s15, s11
	v_mov_b32_e32 v3, s11
	v_add_co_u32_e32 v4, vcc, s10, v4
	s_mov_b32 s15, 0
	v_addc_co_u32_e32 v5, vcc, v3, v5, vcc
	s_lshl_b32 s14, s20, 2
	s_mov_b64 s[10:11], 0
	v_mov_b32_e32 v3, s15
.LBB8_10:                               ; =>This Inner Loop Header: Depth=1
	global_load_dword v6, v[4:5], off
	v_add_co_u32_e32 v4, vcc, s14, v4
	v_add_u32_e32 v2, s20, v2
	v_addc_co_u32_e32 v5, vcc, v5, v3, vcc
	v_cmp_le_i32_e32 vcc, s16, v2
	s_or_b64 s[10:11], vcc, s[10:11]
	s_waitcnt vmcnt(0)
	v_fmac_f32_e32 v1, v6, v6
	s_andn2_b64 exec, exec, s[10:11]
	s_cbranch_execnz .LBB8_10
; %bb.11:
	s_or_b64 exec, exec, s[10:11]
.LBB8_12:
	s_or_b64 exec, exec, s[12:13]
	s_branch .LBB8_19
.LBB8_13:
                                        ; implicit-def: $vgpr1
	s_cbranch_execz .LBB8_19
; %bb.14:
	s_ashr_i32 s12, s7, 1
	v_cmp_gt_i32_e32 vcc, s12, v0
	v_mov_b32_e32 v1, 0
	s_and_saveexec_b64 s[10:11], vcc
	s_cbranch_execz .LBB8_18
; %bb.15:
	s_add_u32 s0, s0, s8
	v_lshlrev_b32_e32 v1, 3, v0
	s_addc_u32 s1, s1, s9
	v_mov_b32_e32 v2, s1
	v_add_co_u32_e32 v1, vcc, s0, v1
	v_addc_co_u32_e32 v3, vcc, 0, v2, vcc
	s_mov_b32 s13, 0
	v_add_co_u32_e32 v2, vcc, 4, v1
	v_addc_co_u32_e32 v3, vcc, 0, v3, vcc
	s_lshl_b32 s8, s20, 3
	s_mov_b64 s[0:1], 0
	v_mov_b32_e32 v1, 0
	v_mov_b32_e32 v4, s13
	;; [unrolled: 1-line block ×3, first 2 shown]
.LBB8_16:                               ; =>This Inner Loop Header: Depth=1
	global_load_dwordx2 v[6:7], v[2:3], off offset:-4
	v_add_co_u32_e32 v2, vcc, s8, v2
	v_add_u32_e32 v5, s20, v5
	v_addc_co_u32_e32 v3, vcc, v3, v4, vcc
	v_cmp_le_i32_e32 vcc, s12, v5
	s_or_b64 s[0:1], vcc, s[0:1]
	s_waitcnt vmcnt(0)
	v_fmac_f32_e32 v1, v6, v6
	v_fmac_f32_e32 v1, v7, v7
	s_andn2_b64 exec, exec, s[0:1]
	s_cbranch_execnz .LBB8_16
; %bb.17:
	s_or_b64 exec, exec, s[0:1]
.LBB8_18:
	s_or_b64 exec, exec, s[10:11]
.LBB8_19:
	v_mbcnt_lo_u32_b32 v2, -1, 0
	v_mbcnt_hi_u32_b32 v2, -1, v2
	v_and_b32_e32 v3, 63, v2
	v_cmp_ne_u32_e32 vcc, 63, v3
	v_addc_co_u32_e32 v4, vcc, 0, v2, vcc
	v_lshlrev_b32_e32 v4, 2, v4
	ds_bpermute_b32 v4, v4, v1
	v_and_b32_e32 v5, 0x3c0, v0
	v_sub_u32_e64 v5, s20, v5 clamp
	v_add_u32_e32 v6, 1, v2
	v_cmp_lt_u32_e32 vcc, v6, v5
	s_waitcnt lgkmcnt(0)
	v_add_f32_e32 v4, v1, v4
	v_cndmask_b32_e32 v1, v1, v4, vcc
	v_cmp_gt_u32_e32 vcc, 62, v3
	v_cndmask_b32_e64 v4, 0, 1, vcc
	v_lshlrev_b32_e32 v4, 1, v4
	v_add_lshl_u32 v4, v4, v2, 2
	ds_bpermute_b32 v4, v4, v1
	v_add_u32_e32 v6, 2, v2
	v_cmp_lt_u32_e32 vcc, v6, v5
	v_add_u32_e32 v6, 4, v2
	s_waitcnt lgkmcnt(0)
	v_add_f32_e32 v4, v1, v4
	v_cndmask_b32_e32 v1, v1, v4, vcc
	v_cmp_gt_u32_e32 vcc, 60, v3
	v_cndmask_b32_e64 v4, 0, 1, vcc
	v_lshlrev_b32_e32 v4, 2, v4
	v_add_lshl_u32 v4, v4, v2, 2
	ds_bpermute_b32 v4, v4, v1
	v_cmp_lt_u32_e32 vcc, v6, v5
	v_add_u32_e32 v6, 8, v2
	s_waitcnt lgkmcnt(0)
	v_add_f32_e32 v4, v1, v4
	v_cndmask_b32_e32 v1, v1, v4, vcc
	v_cmp_gt_u32_e32 vcc, 56, v3
	v_cndmask_b32_e64 v4, 0, 1, vcc
	v_lshlrev_b32_e32 v4, 3, v4
	v_add_lshl_u32 v4, v4, v2, 2
	ds_bpermute_b32 v4, v4, v1
	;; [unrolled: 10-line block ×3, first 2 shown]
	v_cmp_lt_u32_e32 vcc, v6, v5
	s_waitcnt lgkmcnt(0)
	v_add_f32_e32 v4, v1, v4
	v_cndmask_b32_e32 v1, v1, v4, vcc
	v_cmp_gt_u32_e32 vcc, 32, v3
	v_cndmask_b32_e64 v3, 0, 1, vcc
	v_lshlrev_b32_e32 v3, 5, v3
	v_add_lshl_u32 v3, v3, v2, 2
	ds_bpermute_b32 v3, v3, v1
	v_add_u32_e32 v4, 32, v2
	v_cmp_lt_u32_e32 vcc, v4, v5
	s_waitcnt lgkmcnt(0)
	v_add_f32_e32 v3, v1, v3
	v_cndmask_b32_e32 v1, v1, v3, vcc
	v_cmp_eq_u32_e32 vcc, 0, v2
	s_and_saveexec_b64 s[0:1], vcc
	s_cbranch_execz .LBB8_21
; %bb.20:
	v_lshrrev_b32_e32 v3, 4, v0
	v_and_b32_e32 v3, 60, v3
	ds_write_b32 v3, v1
.LBB8_21:
	s_or_b64 exec, exec, s[0:1]
	v_cmp_gt_u32_e32 vcc, 16, v0
	s_waitcnt lgkmcnt(0)
	s_barrier
	s_and_saveexec_b64 s[8:9], vcc
	s_cbranch_execz .LBB8_23
; %bb.22:
	v_lshlrev_b32_e32 v1, 2, v2
	ds_read_b32 v1, v1
	v_and_b32_e32 v3, 15, v2
	v_cmp_ne_u32_e32 vcc, 15, v3
	v_addc_co_u32_e32 v4, vcc, 0, v2, vcc
	v_lshlrev_b32_e32 v4, 2, v4
	s_waitcnt lgkmcnt(0)
	ds_bpermute_b32 v4, v4, v1
	s_add_i32 s0, s20, 63
	s_lshr_b32 s10, s0, 6
	v_add_u32_e32 v5, 1, v3
	v_cmp_gt_u32_e64 s[0:1], 14, v3
	v_cmp_gt_u32_e32 vcc, s10, v5
	v_cndmask_b32_e64 v5, 0, 1, s[0:1]
	s_waitcnt lgkmcnt(0)
	v_add_f32_e32 v4, v1, v4
	v_lshlrev_b32_e32 v5, 1, v5
	v_cndmask_b32_e32 v4, v1, v4, vcc
	v_add_lshl_u32 v5, v5, v2, 2
	ds_bpermute_b32 v5, v5, v4
	v_add_u32_e32 v6, 2, v3
	v_cmp_gt_u32_e64 s[0:1], s10, v6
	v_add_u32_e32 v6, 4, v3
	s_waitcnt lgkmcnt(0)
	v_add_f32_e32 v5, v4, v5
	v_cndmask_b32_e64 v4, v4, v5, s[0:1]
	v_cmp_gt_u32_e64 s[0:1], 12, v3
	v_cndmask_b32_e64 v5, 0, 1, s[0:1]
	v_lshlrev_b32_e32 v5, 2, v5
	v_add_lshl_u32 v5, v5, v2, 2
	ds_bpermute_b32 v5, v5, v4
	v_cmp_gt_u32_e64 s[0:1], s10, v6
	s_waitcnt lgkmcnt(0)
	v_add_f32_e32 v5, v4, v5
	v_cndmask_b32_e64 v4, v4, v5, s[0:1]
	v_cmp_gt_u32_e64 s[0:1], 8, v3
	v_cndmask_b32_e64 v5, 0, 1, s[0:1]
	v_lshlrev_b32_e32 v5, 3, v5
	v_add_lshl_u32 v2, v5, v2, 2
	ds_bpermute_b32 v2, v2, v4
	v_add_u32_e32 v3, 8, v3
	v_cmp_gt_u32_e64 s[0:1], s10, v3
	s_waitcnt lgkmcnt(0)
	v_add_f32_e32 v2, v4, v2
	v_cndmask_b32_e64 v2, v4, v2, s[0:1]
	v_cndmask_b32_e32 v1, v1, v2, vcc
.LBB8_23:
	s_or_b64 exec, exec, s[8:9]
	v_cmp_eq_u32_e32 vcc, 0, v0
	s_and_saveexec_b64 s[0:1], vcc
	s_cbranch_execz .LBB8_25
; %bb.24:
	v_cvt_f32_i32_e32 v2, s7
	s_load_dword s10, s[4:5], 0x28
	v_div_scale_f32 v3, s[8:9], v2, v2, v1
	v_rcp_f32_e32 v4, v3
	v_div_scale_f32 v5, vcc, v1, v2, v1
	s_mov_b32 s8, 0x800000
	v_fma_f32 v6, -v3, v4, 1.0
	v_fmac_f32_e32 v4, v6, v4
	v_mul_f32_e32 v6, v5, v4
	v_fma_f32 v7, -v3, v6, v5
	v_fmac_f32_e32 v6, v7, v4
	v_fma_f32 v3, -v3, v6, v5
	v_div_fmas_f32 v3, v3, v4, v6
	v_div_fixup_f32 v1, v3, v2, v1
	s_waitcnt lgkmcnt(0)
	v_add_f32_e32 v1, s10, v1
	v_mul_f32_e32 v2, 0x4b800000, v1
	v_cmp_gt_f32_e32 vcc, s8, v1
	v_cndmask_b32_e32 v1, v1, v2, vcc
	v_rsq_f32_e32 v1, v1
	v_mul_f32_e32 v2, 0x45800000, v1
	v_cndmask_b32_e32 v1, v1, v2, vcc
	v_mov_b32_e32 v2, 0
	ds_write_b32 v2, v1 offset:64
.LBB8_25:
	s_or_b64 exec, exec, s[0:1]
	s_lshr_b32 s0, s7, 31
	s_add_i32 s0, s7, s0
	s_ashr_i32 s21, s0, 1
	v_cmp_gt_i32_e32 vcc, s21, v0
	s_waitcnt lgkmcnt(0)
	s_barrier
	s_and_saveexec_b64 s[0:1], vcc
	s_cbranch_execz .LBB8_48
; %bb.26:
	s_load_dwordx4 s[8:11], s[4:5], 0x18
	s_load_dwordx2 s[12:13], s[4:5], 0x0
	v_mov_b32_e32 v3, 0
	ds_read_b32 v1, v3 offset:64
	s_mul_i32 s6, s6, s7
	s_waitcnt lgkmcnt(0)
	s_load_dword s4, s[10:11], 0x0
	v_lshl_or_b32 v2, v0, 3, 4
	s_lshl_b32 s22, s20, 1
	v_lshl_add_u32 v12, v0, 1, s6
	s_lshl_b32 s23, s20, 3
	s_waitcnt lgkmcnt(0)
	v_div_scale_f32 v4, s[0:1], s4, s4, 1.0
	v_rcp_f32_e32 v5, v4
	v_div_scale_f32 v6, vcc, 1.0, s4, 1.0
	s_mov_b32 s24, 0
	v_fma_f32 v7, -v4, v5, 1.0
	v_fmac_f32_e32 v5, v7, v5
	v_mul_f32_e32 v7, v6, v5
	v_fma_f32 v8, -v4, v7, v6
	v_fmac_f32_e32 v7, v8, v5
	v_fma_f32 v4, -v4, v7, v6
	v_div_fmas_f32 v4, v4, v5, v7
	v_div_fixup_f32 v13, v4, s4, 1.0
	s_mov_b64 s[4:5], 0
	v_mov_b32_e32 v14, s3
	v_mov_b32_e32 v15, s9
	s_movk_i32 s3, 0x7f
	s_mov_b64 s[6:7], 0x7f800000
	s_mov_b64 s[10:11], 0x43700001
	s_movk_i32 s9, 0x78
	s_movk_i32 s25, 0x80
	v_mov_b32_e32 v16, 0x77
	v_mov_b32_e32 v17, 0xffffff8a
	v_pk_mov_b32 v[4:5], v[2:3], v[2:3] op_sel:[0,1]
	s_branch .LBB8_31
.LBB8_27:                               ;   in Loop: Header=BB8_31 Depth=1
	s_or_b64 exec, exec, s[0:1]
	v_lshrrev_b64 v[6:7], 20, v[6:7]
	v_cmp_gt_i32_e32 vcc, 16, v2
	v_and_b32_sdwa v8, v8, s25 dst_sel:DWORD dst_unused:UNUSED_PAD src0_sel:BYTE_3 src1_sel:DWORD
	v_min_i32_e32 v9, 15, v2
	v_cndmask_b32_e32 v7, 0, v7, vcc
	v_cndmask_b32_e32 v6, 7, v6, vcc
	v_cmp_eq_u32_e32 vcc, 0, v2
	v_cmp_eq_u64_e64 s[0:1], 0, v[6:7]
	v_lshl_or_b32 v2, v9, 3, v8
	v_and_or_b32 v2, v6, 7, v2
	s_and_b64 s[0:1], vcc, s[0:1]
	v_cndmask_b32_e64 v6, v2, 0, s[0:1]
.LBB8_28:                               ;   in Loop: Header=BB8_31 Depth=1
	s_or_b64 exec, exec, s[18:19]
.LBB8_29:                               ;   in Loop: Header=BB8_31 Depth=1
	s_andn2_saveexec_b64 s[0:1], s[16:17]
	s_or_b64 exec, exec, s[0:1]
.LBB8_30:                               ;   in Loop: Header=BB8_31 Depth=1
	s_andn2_saveexec_b64 s[0:1], s[14:15]
	s_or_b64 exec, exec, s[0:1]
	v_add_u32_e32 v0, s20, v0
	v_add_u32_e32 v2, 1, v12
	v_cmp_le_i32_e32 vcc, s21, v0
	global_store_byte v2, v6, s[12:13]
	v_mov_b32_e32 v2, s24
	s_or_b64 s[4:5], vcc, s[4:5]
	v_add_co_u32_e32 v4, vcc, s23, v4
	v_add_u32_e32 v12, s22, v12
	v_addc_co_u32_e32 v5, vcc, v5, v2, vcc
	s_andn2_b64 exec, exec, s[4:5]
	s_cbranch_execz .LBB8_48
.LBB8_31:                               ; =>This Inner Loop Header: Depth=1
	v_add_co_u32_e32 v6, vcc, s2, v4
	v_addc_co_u32_e32 v7, vcc, v14, v5, vcc
	v_add_co_u32_e32 v8, vcc, s8, v4
	global_load_dwordx2 v[6:7], v[6:7], off offset:-4
	v_addc_co_u32_e32 v9, vcc, v15, v5, vcc
	global_load_dwordx2 v[8:9], v[8:9], off offset:-4
	s_waitcnt vmcnt(1)
	v_mul_f32_e32 v2, v6, v1
	s_waitcnt vmcnt(0)
	v_mul_f32_e32 v2, v2, v8
	v_mul_f32_e32 v2, v13, v2
	v_min_f32_e32 v2, 0x43600000, v2
	v_max_f32_e32 v6, 0xc3600000, v2
	v_and_b32_e32 v2, 0x7f800000, v6
	v_or_b32_sdwa v8, v6, s3 dst_sel:DWORD dst_unused:UNUSED_PAD src0_sel:BYTE_3 src1_sel:DWORD
	v_cmp_ne_u64_e32 vcc, s[6:7], v[2:3]
	s_and_saveexec_b64 s[0:1], vcc
	s_xor_b64 s[14:15], exec, s[0:1]
	s_cbranch_execz .LBB8_41
; %bb.32:                               ;   in Loop: Header=BB8_31 Depth=1
	v_and_b32_e32 v2, 0x7fffffff, v6
	v_cmp_gt_u64_e32 vcc, s[10:11], v[2:3]
	s_and_saveexec_b64 s[0:1], vcc
	s_xor_b64 s[16:17], exec, s[0:1]
	s_cbranch_execz .LBB8_40
; %bb.33:                               ;   in Loop: Header=BB8_31 Depth=1
	v_cmp_ne_u32_e32 vcc, 0, v6
	v_mov_b32_e32 v8, 0
	s_and_saveexec_b64 s[18:19], vcc
	s_cbranch_execz .LBB8_39
; %bb.34:                               ;   in Loop: Header=BB8_31 Depth=1
	v_bfe_u32 v8, v6, 23, 8
	v_sub_u32_e64 v10, s9, v8 clamp
	v_cmp_eq_u32_e32 vcc, 0, v8
	v_and_b32_e32 v2, 0x7fffff, v6
	v_add_u32_e32 v20, 0xffffff89, v8
	v_cndmask_b32_e32 v8, v10, v16, vcc
	v_or_b32_e32 v11, 0x800000, v2
	v_add_u32_e32 v10, 20, v8
	v_cndmask_b32_e32 v2, v11, v2, vcc
	v_lshlrev_b64 v[10:11], v10, -1
	v_not_b32_e32 v10, v10
	v_add_u32_e32 v18, 19, v8
	v_and_b32_e32 v10, v2, v10
	v_mov_b32_e32 v11, v3
	v_lshlrev_b64 v[18:19], v18, 1
	v_cmp_eq_u64_e64 s[0:1], v[10:11], v[18:19]
	v_lshrrev_b64 v[10:11], v8, v[2:3]
	v_cndmask_b32_e32 v2, v20, v17, vcc
	v_lshrrev_b32_e32 v18, 23, v10
	v_add3_u32 v8, v2, v8, v18
	v_and_b32_e32 v2, 0x100000, v10
	v_cmp_eq_u64_e32 vcc, 0, v[2:3]
	s_and_b64 vcc, vcc, s[0:1]
	v_subbrev_co_u32_e32 v2, vcc, 0, v10, vcc
	v_and_b32_e32 v2, 0xfffff, v2
	v_add_co_u32_e32 v10, vcc, v2, v10
	v_add_u32_e32 v18, -1, v8
	v_addc_co_u32_e32 v11, vcc, 0, v11, vcc
	v_cmp_ne_u32_e32 vcc, 0, v18
                                        ; implicit-def: $vgpr2
	s_and_saveexec_b64 s[0:1], vcc
	s_xor_b64 s[0:1], exec, s[0:1]
; %bb.35:                               ;   in Loop: Header=BB8_31 Depth=1
	v_and_b32_e32 v2, 0x1000000, v10
	v_cmp_eq_u64_e32 vcc, 0, v[2:3]
	v_cndmask_b32_e32 v2, v8, v18, vcc
	v_bfe_u32 v8, v10, 24, 1
	v_lshrrev_b64 v[10:11], v8, v[10:11]
; %bb.36:                               ;   in Loop: Header=BB8_31 Depth=1
	s_andn2_saveexec_b64 s[0:1], s[0:1]
; %bb.37:                               ;   in Loop: Header=BB8_31 Depth=1
	v_bfe_u32 v2, v10, 23, 1
; %bb.38:                               ;   in Loop: Header=BB8_31 Depth=1
	s_or_b64 exec, exec, s[0:1]
	v_lshrrev_b64 v[10:11], 20, v[10:11]
	v_cmp_gt_i32_e32 vcc, 16, v2
	v_and_b32_sdwa v6, v6, s25 dst_sel:DWORD dst_unused:UNUSED_PAD src0_sel:BYTE_3 src1_sel:DWORD
	v_min_i32_e32 v8, 15, v2
	v_cndmask_b32_e32 v11, 0, v11, vcc
	v_cndmask_b32_e32 v10, 7, v10, vcc
	v_cmp_eq_u32_e32 vcc, 0, v2
	v_cmp_eq_u64_e64 s[0:1], 0, v[10:11]
	v_lshl_or_b32 v2, v8, 3, v6
	v_and_or_b32 v2, v10, 7, v2
	s_and_b64 s[0:1], vcc, s[0:1]
	v_cndmask_b32_e64 v8, v2, 0, s[0:1]
.LBB8_39:                               ;   in Loop: Header=BB8_31 Depth=1
	s_or_b64 exec, exec, s[18:19]
.LBB8_40:                               ;   in Loop: Header=BB8_31 Depth=1
	s_andn2_saveexec_b64 s[0:1], s[16:17]
	s_or_b64 exec, exec, s[0:1]
.LBB8_41:                               ;   in Loop: Header=BB8_31 Depth=1
	s_andn2_saveexec_b64 s[0:1], s[14:15]
	s_or_b64 exec, exec, s[0:1]
	v_mul_f32_e32 v2, v7, v1
	v_mul_f32_e32 v2, v2, v9
	;; [unrolled: 1-line block ×3, first 2 shown]
	v_min_f32_e32 v2, 0x43600000, v2
	global_store_byte v12, v8, s[12:13]
	v_max_f32_e32 v8, 0xc3600000, v2
	v_and_b32_e32 v2, 0x7f800000, v8
	v_or_b32_sdwa v6, v8, s3 dst_sel:DWORD dst_unused:UNUSED_PAD src0_sel:BYTE_3 src1_sel:DWORD
	v_cmp_ne_u64_e32 vcc, s[6:7], v[2:3]
	s_and_saveexec_b64 s[0:1], vcc
	s_xor_b64 s[14:15], exec, s[0:1]
	s_cbranch_execz .LBB8_30
; %bb.42:                               ;   in Loop: Header=BB8_31 Depth=1
	v_and_b32_e32 v2, 0x7fffffff, v8
	v_cmp_gt_u64_e32 vcc, s[10:11], v[2:3]
	s_and_saveexec_b64 s[0:1], vcc
	s_xor_b64 s[16:17], exec, s[0:1]
	s_cbranch_execz .LBB8_29
; %bb.43:                               ;   in Loop: Header=BB8_31 Depth=1
	v_cmp_ne_u32_e32 vcc, 0, v8
	v_mov_b32_e32 v6, 0
	s_and_saveexec_b64 s[18:19], vcc
	s_cbranch_execz .LBB8_28
; %bb.44:                               ;   in Loop: Header=BB8_31 Depth=1
	v_bfe_u32 v6, v8, 23, 8
	v_sub_u32_e64 v7, s9, v6 clamp
	v_cmp_eq_u32_e32 vcc, 0, v6
	v_cndmask_b32_e32 v19, v7, v16, vcc
	v_and_b32_e32 v2, 0x7fffff, v8
	v_add_u32_e32 v18, 0xffffff89, v6
	v_add_u32_e32 v6, 20, v19
	v_or_b32_e32 v9, 0x800000, v2
	v_lshlrev_b64 v[6:7], v6, -1
	v_cndmask_b32_e32 v2, v9, v2, vcc
	v_not_b32_e32 v6, v6
	v_add_u32_e32 v9, 19, v19
	v_and_b32_e32 v6, v2, v6
	v_mov_b32_e32 v7, v3
	v_lshlrev_b64 v[10:11], v9, 1
	v_cmp_eq_u64_e64 s[0:1], v[6:7], v[10:11]
	v_lshrrev_b64 v[6:7], v19, v[2:3]
	v_cndmask_b32_e32 v2, v18, v17, vcc
	v_lshrrev_b32_e32 v9, 23, v6
	v_add3_u32 v9, v2, v19, v9
	v_and_b32_e32 v2, 0x100000, v6
	v_cmp_eq_u64_e32 vcc, 0, v[2:3]
	s_and_b64 vcc, vcc, s[0:1]
	v_subbrev_co_u32_e32 v2, vcc, 0, v6, vcc
	v_and_b32_e32 v2, 0xfffff, v2
	v_add_co_u32_e32 v6, vcc, v2, v6
	v_add_u32_e32 v10, -1, v9
	v_addc_co_u32_e32 v7, vcc, 0, v7, vcc
	v_cmp_ne_u32_e32 vcc, 0, v10
                                        ; implicit-def: $vgpr2
	s_and_saveexec_b64 s[0:1], vcc
	s_xor_b64 s[0:1], exec, s[0:1]
; %bb.45:                               ;   in Loop: Header=BB8_31 Depth=1
	v_and_b32_e32 v2, 0x1000000, v6
	v_cmp_eq_u64_e32 vcc, 0, v[2:3]
	v_cndmask_b32_e32 v2, v9, v10, vcc
	v_bfe_u32 v9, v6, 24, 1
	v_lshrrev_b64 v[6:7], v9, v[6:7]
; %bb.46:                               ;   in Loop: Header=BB8_31 Depth=1
	s_andn2_saveexec_b64 s[0:1], s[0:1]
	s_cbranch_execz .LBB8_27
; %bb.47:                               ;   in Loop: Header=BB8_31 Depth=1
	v_bfe_u32 v2, v6, 23, 1
	s_branch .LBB8_27
.LBB8_48:
	s_endpgm
	.section	.rodata,"a",@progbits
	.p2align	6, 0x0
	.amdhsa_kernel _ZN4vllm32rms_norm_static_fp8_quant_kernelIfN3c1015Float8_e4m3fnuzELi2EEEvPT0_PKT_iS7_PKffii
		.amdhsa_group_segment_fixed_size 68
		.amdhsa_private_segment_fixed_size 0
		.amdhsa_kernarg_size 312
		.amdhsa_user_sgpr_count 6
		.amdhsa_user_sgpr_private_segment_buffer 1
		.amdhsa_user_sgpr_dispatch_ptr 0
		.amdhsa_user_sgpr_queue_ptr 0
		.amdhsa_user_sgpr_kernarg_segment_ptr 1
		.amdhsa_user_sgpr_dispatch_id 0
		.amdhsa_user_sgpr_flat_scratch_init 0
		.amdhsa_user_sgpr_kernarg_preload_length 0
		.amdhsa_user_sgpr_kernarg_preload_offset 0
		.amdhsa_user_sgpr_private_segment_size 0
		.amdhsa_uses_dynamic_stack 0
		.amdhsa_system_sgpr_private_segment_wavefront_offset 0
		.amdhsa_system_sgpr_workgroup_id_x 1
		.amdhsa_system_sgpr_workgroup_id_y 0
		.amdhsa_system_sgpr_workgroup_id_z 0
		.amdhsa_system_sgpr_workgroup_info 0
		.amdhsa_system_vgpr_workitem_id 0
		.amdhsa_next_free_vgpr 21
		.amdhsa_next_free_sgpr 26
		.amdhsa_accum_offset 24
		.amdhsa_reserve_vcc 1
		.amdhsa_reserve_flat_scratch 0
		.amdhsa_float_round_mode_32 0
		.amdhsa_float_round_mode_16_64 0
		.amdhsa_float_denorm_mode_32 3
		.amdhsa_float_denorm_mode_16_64 3
		.amdhsa_dx10_clamp 1
		.amdhsa_ieee_mode 1
		.amdhsa_fp16_overflow 0
		.amdhsa_tg_split 0
		.amdhsa_exception_fp_ieee_invalid_op 0
		.amdhsa_exception_fp_denorm_src 0
		.amdhsa_exception_fp_ieee_div_zero 0
		.amdhsa_exception_fp_ieee_overflow 0
		.amdhsa_exception_fp_ieee_underflow 0
		.amdhsa_exception_fp_ieee_inexact 0
		.amdhsa_exception_int_div_zero 0
	.end_amdhsa_kernel
	.section	.text._ZN4vllm32rms_norm_static_fp8_quant_kernelIfN3c1015Float8_e4m3fnuzELi2EEEvPT0_PKT_iS7_PKffii,"axG",@progbits,_ZN4vllm32rms_norm_static_fp8_quant_kernelIfN3c1015Float8_e4m3fnuzELi2EEEvPT0_PKT_iS7_PKffii,comdat
.Lfunc_end8:
	.size	_ZN4vllm32rms_norm_static_fp8_quant_kernelIfN3c1015Float8_e4m3fnuzELi2EEEvPT0_PKT_iS7_PKffii, .Lfunc_end8-_ZN4vllm32rms_norm_static_fp8_quant_kernelIfN3c1015Float8_e4m3fnuzELi2EEEvPT0_PKT_iS7_PKffii
                                        ; -- End function
	.section	.AMDGPU.csdata,"",@progbits
; Kernel info:
; codeLenInByte = 2608
; NumSgprs: 30
; NumVgprs: 21
; NumAgprs: 0
; TotalNumVgprs: 21
; ScratchSize: 0
; MemoryBound: 0
; FloatMode: 240
; IeeeMode: 1
; LDSByteSize: 68 bytes/workgroup (compile time only)
; SGPRBlocks: 3
; VGPRBlocks: 2
; NumSGPRsForWavesPerEU: 30
; NumVGPRsForWavesPerEU: 21
; AccumOffset: 24
; Occupancy: 8
; WaveLimiterHint : 0
; COMPUTE_PGM_RSRC2:SCRATCH_EN: 0
; COMPUTE_PGM_RSRC2:USER_SGPR: 6
; COMPUTE_PGM_RSRC2:TRAP_HANDLER: 0
; COMPUTE_PGM_RSRC2:TGID_X_EN: 1
; COMPUTE_PGM_RSRC2:TGID_Y_EN: 0
; COMPUTE_PGM_RSRC2:TGID_Z_EN: 0
; COMPUTE_PGM_RSRC2:TIDIG_COMP_CNT: 0
; COMPUTE_PGM_RSRC3_GFX90A:ACCUM_OFFSET: 5
; COMPUTE_PGM_RSRC3_GFX90A:TG_SPLIT: 0
	.section	.text._ZN4vllm32rms_norm_static_fp8_quant_kernelIfN3c1015Float8_e4m3fnuzELi1EEEvPT0_PKT_iS7_PKffii,"axG",@progbits,_ZN4vllm32rms_norm_static_fp8_quant_kernelIfN3c1015Float8_e4m3fnuzELi1EEEvPT0_PKT_iS7_PKffii,comdat
	.protected	_ZN4vllm32rms_norm_static_fp8_quant_kernelIfN3c1015Float8_e4m3fnuzELi1EEEvPT0_PKT_iS7_PKffii ; -- Begin function _ZN4vllm32rms_norm_static_fp8_quant_kernelIfN3c1015Float8_e4m3fnuzELi1EEEvPT0_PKT_iS7_PKffii
	.globl	_ZN4vllm32rms_norm_static_fp8_quant_kernelIfN3c1015Float8_e4m3fnuzELi1EEEvPT0_PKT_iS7_PKffii
	.p2align	8
	.type	_ZN4vllm32rms_norm_static_fp8_quant_kernelIfN3c1015Float8_e4m3fnuzELi1EEEvPT0_PKT_iS7_PKffii,@function
_ZN4vllm32rms_norm_static_fp8_quant_kernelIfN3c1015Float8_e4m3fnuzELi1EEEvPT0_PKT_iS7_PKffii: ; @_ZN4vllm32rms_norm_static_fp8_quant_kernelIfN3c1015Float8_e4m3fnuzELi1EEEvPT0_PKT_iS7_PKffii
; %bb.0:
	s_load_dword s0, s[4:5], 0x10
	s_load_dwordx2 s[2:3], s[4:5], 0x8
	s_load_dword s18, s[4:5], 0x30
	s_load_dword s10, s[4:5], 0x44
	s_mov_b32 s1, 0
	s_waitcnt lgkmcnt(0)
	s_mul_i32 s0, s6, s0
	s_lshl_b64 s[8:9], s[0:1], 2
	s_add_u32 s19, s2, s8
	s_addc_u32 s7, s3, s9
	s_and_b32 s20, s10, 0xffff
	s_and_b32 s0, s19, 3
	s_cmp_lg_u64 s[0:1], 0
	s_cbranch_scc0 .LBB9_6
; %bb.1:
	s_min_i32 s10, s18, 0
	s_sub_i32 s12, s18, s10
	v_cmp_gt_i32_e32 vcc, s12, v0
	v_mov_b32_e32 v4, 0
	s_and_saveexec_b64 s[0:1], vcc
	s_cbranch_execz .LBB9_5
; %bb.2:
	s_ashr_i32 s11, s10, 31
	s_lshl_b64 s[10:11], s[10:11], 2
	s_add_u32 s13, s2, s8
	s_addc_u32 s15, s3, s9
	s_add_u32 s10, s13, s10
	v_lshlrev_b32_e32 v1, 2, v0
	s_addc_u32 s11, s15, s11
	s_mov_b32 s14, 0
	v_mov_b32_e32 v3, s11
	v_add_co_u32_e32 v2, vcc, s10, v1
	v_addc_co_u32_e32 v3, vcc, 0, v3, vcc
	s_lshl_b32 s13, s20, 2
	s_mov_b64 s[10:11], 0
	v_mov_b32_e32 v4, 0
	v_mov_b32_e32 v1, s14
	;; [unrolled: 1-line block ×3, first 2 shown]
.LBB9_3:                                ; =>This Inner Loop Header: Depth=1
	global_load_dword v6, v[2:3], off
	v_add_co_u32_e32 v2, vcc, s13, v2
	v_add_u32_e32 v5, s20, v5
	v_addc_co_u32_e32 v3, vcc, v3, v1, vcc
	v_cmp_le_i32_e32 vcc, s12, v5
	s_or_b64 s[10:11], vcc, s[10:11]
	s_waitcnt vmcnt(0)
	v_fmac_f32_e32 v4, v6, v6
	s_andn2_b64 exec, exec, s[10:11]
	s_cbranch_execnz .LBB9_3
; %bb.4:
	s_or_b64 exec, exec, s[10:11]
.LBB9_5:
	s_or_b64 exec, exec, s[0:1]
	v_cmp_gt_i32_e64 s[0:1], s18, v0
	s_cbranch_execz .LBB9_7
	s_branch .LBB9_12
.LBB9_6:
                                        ; implicit-def: $vgpr4
	v_cmp_gt_i32_e64 s[0:1], s18, v0
.LBB9_7:
	v_mov_b32_e32 v4, 0
	s_and_saveexec_b64 s[10:11], s[0:1]
	s_cbranch_execz .LBB9_11
; %bb.8:
	s_add_u32 s0, s2, s8
	v_lshlrev_b32_e32 v1, 2, v0
	s_addc_u32 s1, s3, s9
	s_mov_b32 s12, 0
	v_mov_b32_e32 v3, s1
	v_add_co_u32_e32 v2, vcc, s0, v1
	v_addc_co_u32_e32 v3, vcc, 0, v3, vcc
	s_lshl_b32 s2, s20, 2
	s_mov_b64 s[0:1], 0
	v_mov_b32_e32 v4, 0
	v_mov_b32_e32 v1, s12
	;; [unrolled: 1-line block ×3, first 2 shown]
.LBB9_9:                                ; =>This Inner Loop Header: Depth=1
	global_load_dword v6, v[2:3], off
	v_add_co_u32_e32 v2, vcc, s2, v2
	v_add_u32_e32 v5, s20, v5
	v_addc_co_u32_e32 v3, vcc, v3, v1, vcc
	v_cmp_le_i32_e32 vcc, s18, v5
	s_or_b64 s[0:1], vcc, s[0:1]
	s_waitcnt vmcnt(0)
	v_fmac_f32_e32 v4, v6, v6
	s_andn2_b64 exec, exec, s[0:1]
	s_cbranch_execnz .LBB9_9
; %bb.10:
	s_or_b64 exec, exec, s[0:1]
.LBB9_11:
	s_or_b64 exec, exec, s[10:11]
.LBB9_12:
	v_mbcnt_lo_u32_b32 v1, -1, 0
	v_mbcnt_hi_u32_b32 v1, -1, v1
	v_and_b32_e32 v2, 63, v1
	v_cmp_ne_u32_e32 vcc, 63, v2
	v_addc_co_u32_e32 v3, vcc, 0, v1, vcc
	v_lshlrev_b32_e32 v3, 2, v3
	ds_bpermute_b32 v3, v3, v4
	v_and_b32_e32 v5, 0x3c0, v0
	v_sub_u32_e64 v5, s20, v5 clamp
	v_add_u32_e32 v6, 1, v1
	v_cmp_lt_u32_e32 vcc, v6, v5
	s_waitcnt lgkmcnt(0)
	v_add_f32_e32 v3, v4, v3
	v_cndmask_b32_e32 v3, v4, v3, vcc
	v_cmp_gt_u32_e32 vcc, 62, v2
	v_cndmask_b32_e64 v4, 0, 1, vcc
	v_lshlrev_b32_e32 v4, 1, v4
	v_add_lshl_u32 v4, v4, v1, 2
	ds_bpermute_b32 v4, v4, v3
	v_add_u32_e32 v6, 2, v1
	v_cmp_lt_u32_e32 vcc, v6, v5
	v_add_u32_e32 v6, 4, v1
	s_waitcnt lgkmcnt(0)
	v_add_f32_e32 v4, v3, v4
	v_cndmask_b32_e32 v3, v3, v4, vcc
	v_cmp_gt_u32_e32 vcc, 60, v2
	v_cndmask_b32_e64 v4, 0, 1, vcc
	v_lshlrev_b32_e32 v4, 2, v4
	v_add_lshl_u32 v4, v4, v1, 2
	ds_bpermute_b32 v4, v4, v3
	v_cmp_lt_u32_e32 vcc, v6, v5
	v_add_u32_e32 v6, 8, v1
	s_waitcnt lgkmcnt(0)
	v_add_f32_e32 v4, v3, v4
	v_cndmask_b32_e32 v3, v3, v4, vcc
	v_cmp_gt_u32_e32 vcc, 56, v2
	v_cndmask_b32_e64 v4, 0, 1, vcc
	v_lshlrev_b32_e32 v4, 3, v4
	v_add_lshl_u32 v4, v4, v1, 2
	ds_bpermute_b32 v4, v4, v3
	;; [unrolled: 10-line block ×3, first 2 shown]
	v_cmp_lt_u32_e32 vcc, v6, v5
	s_waitcnt lgkmcnt(0)
	v_add_f32_e32 v4, v3, v4
	v_cndmask_b32_e32 v3, v3, v4, vcc
	v_cmp_gt_u32_e32 vcc, 32, v2
	v_cndmask_b32_e64 v2, 0, 1, vcc
	v_lshlrev_b32_e32 v2, 5, v2
	v_add_lshl_u32 v2, v2, v1, 2
	ds_bpermute_b32 v2, v2, v3
	v_add_u32_e32 v4, 32, v1
	v_cmp_lt_u32_e32 vcc, v4, v5
	s_waitcnt lgkmcnt(0)
	v_add_f32_e32 v2, v3, v2
	v_cndmask_b32_e32 v2, v3, v2, vcc
	v_cmp_eq_u32_e32 vcc, 0, v1
	s_and_saveexec_b64 s[0:1], vcc
	s_cbranch_execz .LBB9_14
; %bb.13:
	v_lshrrev_b32_e32 v3, 4, v0
	v_and_b32_e32 v3, 60, v3
	ds_write_b32 v3, v2
.LBB9_14:
	s_or_b64 exec, exec, s[0:1]
	v_cmp_gt_u32_e32 vcc, 16, v0
	s_waitcnt lgkmcnt(0)
	s_barrier
	s_and_saveexec_b64 s[2:3], vcc
	s_cbranch_execz .LBB9_16
; %bb.15:
	v_lshlrev_b32_e32 v2, 2, v1
	ds_read_b32 v2, v2
	v_and_b32_e32 v3, 15, v1
	v_cmp_ne_u32_e32 vcc, 15, v3
	v_addc_co_u32_e32 v4, vcc, 0, v1, vcc
	v_lshlrev_b32_e32 v4, 2, v4
	s_waitcnt lgkmcnt(0)
	ds_bpermute_b32 v4, v4, v2
	s_add_i32 s0, s20, 63
	s_lshr_b32 s8, s0, 6
	v_add_u32_e32 v5, 1, v3
	v_cmp_gt_u32_e64 s[0:1], 14, v3
	v_cmp_gt_u32_e32 vcc, s8, v5
	v_cndmask_b32_e64 v5, 0, 1, s[0:1]
	s_waitcnt lgkmcnt(0)
	v_add_f32_e32 v4, v2, v4
	v_lshlrev_b32_e32 v5, 1, v5
	v_cndmask_b32_e32 v4, v2, v4, vcc
	v_add_lshl_u32 v5, v5, v1, 2
	ds_bpermute_b32 v5, v5, v4
	v_add_u32_e32 v6, 2, v3
	v_cmp_gt_u32_e64 s[0:1], s8, v6
	v_add_u32_e32 v6, 4, v3
	s_waitcnt lgkmcnt(0)
	v_add_f32_e32 v5, v4, v5
	v_cndmask_b32_e64 v4, v4, v5, s[0:1]
	v_cmp_gt_u32_e64 s[0:1], 12, v3
	v_cndmask_b32_e64 v5, 0, 1, s[0:1]
	v_lshlrev_b32_e32 v5, 2, v5
	v_add_lshl_u32 v5, v5, v1, 2
	ds_bpermute_b32 v5, v5, v4
	v_cmp_gt_u32_e64 s[0:1], s8, v6
	s_waitcnt lgkmcnt(0)
	v_add_f32_e32 v5, v4, v5
	v_cndmask_b32_e64 v4, v4, v5, s[0:1]
	v_cmp_gt_u32_e64 s[0:1], 8, v3
	v_cndmask_b32_e64 v5, 0, 1, s[0:1]
	v_lshlrev_b32_e32 v5, 3, v5
	v_add_lshl_u32 v1, v5, v1, 2
	ds_bpermute_b32 v1, v1, v4
	v_add_u32_e32 v3, 8, v3
	v_cmp_gt_u32_e64 s[0:1], s8, v3
	s_waitcnt lgkmcnt(0)
	v_add_f32_e32 v1, v4, v1
	v_cndmask_b32_e64 v1, v4, v1, s[0:1]
	v_cndmask_b32_e32 v2, v2, v1, vcc
.LBB9_16:
	s_or_b64 exec, exec, s[2:3]
	v_cmp_eq_u32_e32 vcc, 0, v0
	s_and_saveexec_b64 s[0:1], vcc
	s_cbranch_execz .LBB9_18
; %bb.17:
	v_cvt_f32_i32_e32 v1, s18
	s_load_dword s8, s[4:5], 0x28
	v_div_scale_f32 v3, s[2:3], v1, v1, v2
	v_rcp_f32_e32 v4, v3
	v_div_scale_f32 v5, vcc, v2, v1, v2
	s_mov_b32 s2, 0x800000
	v_fma_f32 v6, -v3, v4, 1.0
	v_fmac_f32_e32 v4, v6, v4
	v_mul_f32_e32 v6, v5, v4
	v_fma_f32 v7, -v3, v6, v5
	v_fmac_f32_e32 v6, v7, v4
	v_fma_f32 v3, -v3, v6, v5
	v_div_fmas_f32 v3, v3, v4, v6
	v_div_fixup_f32 v1, v3, v1, v2
	s_waitcnt lgkmcnt(0)
	v_add_f32_e32 v1, s8, v1
	v_mul_f32_e32 v2, 0x4b800000, v1
	v_cmp_gt_f32_e32 vcc, s2, v1
	v_cndmask_b32_e32 v1, v1, v2, vcc
	v_rsq_f32_e32 v1, v1
	v_mul_f32_e32 v2, 0x45800000, v1
	v_cndmask_b32_e32 v1, v1, v2, vcc
	v_mov_b32_e32 v2, 0
	ds_write_b32 v2, v1 offset:64
.LBB9_18:
	s_or_b64 exec, exec, s[0:1]
	v_cmp_gt_i32_e32 vcc, s18, v0
	s_waitcnt lgkmcnt(0)
	s_barrier
	s_and_saveexec_b64 s[0:1], vcc
	s_cbranch_execz .LBB9_31
; %bb.19:
	s_load_dwordx4 s[8:11], s[4:5], 0x18
	s_load_dwordx2 s[2:3], s[4:5], 0x0
	s_mul_i32 s21, s6, s18
	v_mov_b32_e32 v3, 0
	ds_read_b32 v7, v3 offset:64
	s_waitcnt lgkmcnt(0)
	s_load_dword s6, s[10:11], 0x0
	s_mov_b64 s[4:5], 0
	v_mov_b32_e32 v6, s7
	v_mov_b32_e32 v8, s9
	s_movk_i32 s9, 0x7f
	s_waitcnt lgkmcnt(0)
	v_div_scale_f32 v1, s[0:1], s6, s6, 1.0
	v_rcp_f32_e32 v2, v1
	v_div_scale_f32 v4, vcc, 1.0, s6, 1.0
	s_mov_b64 s[10:11], 0x43700001
	v_fma_f32 v5, -v1, v2, 1.0
	v_fmac_f32_e32 v2, v5, v2
	v_mul_f32_e32 v5, v4, v2
	v_fma_f32 v9, -v1, v5, v4
	v_fmac_f32_e32 v5, v9, v2
	v_fma_f32 v1, -v1, v5, v4
	v_div_fmas_f32 v1, v1, v2, v5
	v_div_fixup_f32 v9, v1, s6, 1.0
	s_mov_b64 s[6:7], 0x7f800000
	s_movk_i32 s22, 0x78
	s_movk_i32 s23, 0x80
	v_mov_b32_e32 v10, 0x77
	v_mov_b32_e32 v11, 0xffffff8a
	s_branch .LBB9_24
.LBB9_20:                               ;   in Loop: Header=BB9_24 Depth=1
	s_or_b64 exec, exec, s[0:1]
	v_lshrrev_b64 v[4:5], 20, v[4:5]
	v_cmp_gt_i32_e32 vcc, 16, v2
	v_and_b32_sdwa v1, v1, s23 dst_sel:DWORD dst_unused:UNUSED_PAD src0_sel:BYTE_3 src1_sel:DWORD
	v_min_i32_e32 v12, 15, v2
	v_cndmask_b32_e32 v5, 0, v5, vcc
	v_cndmask_b32_e32 v4, 7, v4, vcc
	v_cmp_eq_u32_e32 vcc, 0, v2
	v_cmp_eq_u64_e64 s[0:1], 0, v[4:5]
	v_lshl_or_b32 v1, v12, 3, v1
	v_and_or_b32 v1, v4, 7, v1
	s_and_b64 s[0:1], vcc, s[0:1]
	v_cndmask_b32_e64 v4, v1, 0, s[0:1]
.LBB9_21:                               ;   in Loop: Header=BB9_24 Depth=1
	s_or_b64 exec, exec, s[16:17]
.LBB9_22:                               ;   in Loop: Header=BB9_24 Depth=1
	s_andn2_saveexec_b64 s[0:1], s[14:15]
	s_or_b64 exec, exec, s[0:1]
.LBB9_23:                               ;   in Loop: Header=BB9_24 Depth=1
	s_andn2_saveexec_b64 s[0:1], s[12:13]
	s_or_b64 exec, exec, s[0:1]
	v_add_u32_e32 v1, s21, v0
	v_add_u32_e32 v0, s20, v0
	v_cmp_le_i32_e32 vcc, s18, v0
	s_or_b64 s[4:5], vcc, s[4:5]
	global_store_byte v1, v4, s[2:3]
	s_andn2_b64 exec, exec, s[4:5]
	s_cbranch_execz .LBB9_31
.LBB9_24:                               ; =>This Inner Loop Header: Depth=1
	v_ashrrev_i32_e32 v1, 31, v0
	v_lshlrev_b64 v[4:5], 2, v[0:1]
	v_add_co_u32_e32 v12, vcc, s19, v4
	v_addc_co_u32_e32 v13, vcc, v6, v5, vcc
	v_add_co_u32_e32 v4, vcc, s8, v4
	global_load_dword v1, v[12:13], off
	v_addc_co_u32_e32 v5, vcc, v8, v5, vcc
	global_load_dword v2, v[4:5], off
	s_waitcnt vmcnt(1)
	v_mul_f32_e32 v1, v1, v7
	s_waitcnt vmcnt(0)
	v_mul_f32_e32 v1, v2, v1
	v_mul_f32_e32 v1, v9, v1
	v_min_f32_e32 v1, 0x43600000, v1
	v_max_f32_e32 v1, 0xc3600000, v1
	v_and_b32_e32 v2, 0x7f800000, v1
	v_or_b32_sdwa v4, v1, s9 dst_sel:DWORD dst_unused:UNUSED_PAD src0_sel:BYTE_3 src1_sel:DWORD
	v_cmp_ne_u64_e32 vcc, s[6:7], v[2:3]
	s_and_saveexec_b64 s[0:1], vcc
	s_xor_b64 s[12:13], exec, s[0:1]
	s_cbranch_execz .LBB9_23
; %bb.25:                               ;   in Loop: Header=BB9_24 Depth=1
	v_and_b32_e32 v2, 0x7fffffff, v1
	v_cmp_gt_u64_e32 vcc, s[10:11], v[2:3]
	s_and_saveexec_b64 s[0:1], vcc
	s_xor_b64 s[14:15], exec, s[0:1]
	s_cbranch_execz .LBB9_22
; %bb.26:                               ;   in Loop: Header=BB9_24 Depth=1
	v_cmp_ne_u32_e32 vcc, 0, v1
	v_mov_b32_e32 v4, 0
	s_and_saveexec_b64 s[16:17], vcc
	s_cbranch_execz .LBB9_21
; %bb.27:                               ;   in Loop: Header=BB9_24 Depth=1
	v_bfe_u32 v4, v1, 23, 8
	v_sub_u32_e64 v5, s22, v4 clamp
	v_cmp_eq_u32_e32 vcc, 0, v4
	v_cndmask_b32_e32 v15, v5, v10, vcc
	v_and_b32_e32 v2, 0x7fffff, v1
	v_add_u32_e32 v14, 0xffffff89, v4
	v_add_u32_e32 v4, 20, v15
	v_or_b32_e32 v12, 0x800000, v2
	v_lshlrev_b64 v[4:5], v4, -1
	v_cndmask_b32_e32 v2, v12, v2, vcc
	v_not_b32_e32 v4, v4
	v_add_u32_e32 v12, 19, v15
	v_and_b32_e32 v4, v2, v4
	v_mov_b32_e32 v5, v3
	v_lshlrev_b64 v[12:13], v12, 1
	v_cmp_eq_u64_e64 s[0:1], v[4:5], v[12:13]
	s_waitcnt vmcnt(0) expcnt(0) lgkmcnt(0)
	v_swap_b32 v0, v15
	v_lshrrev_b64 v[4:5], v0, v[2:3]
	v_swap_b32 v15, v0
	v_cndmask_b32_e32 v2, v14, v11, vcc
	v_lshrrev_b32_e32 v12, 23, v4
	v_add3_u32 v12, v2, v15, v12
	v_and_b32_e32 v2, 0x100000, v4
	v_cmp_eq_u64_e32 vcc, 0, v[2:3]
	s_and_b64 vcc, vcc, s[0:1]
	v_subbrev_co_u32_e32 v2, vcc, 0, v4, vcc
	v_and_b32_e32 v2, 0xfffff, v2
	v_add_co_u32_e32 v4, vcc, v2, v4
	v_add_u32_e32 v13, -1, v12
	v_addc_co_u32_e32 v5, vcc, 0, v5, vcc
	v_cmp_ne_u32_e32 vcc, 0, v13
                                        ; implicit-def: $vgpr2
	s_and_saveexec_b64 s[0:1], vcc
	s_xor_b64 s[0:1], exec, s[0:1]
; %bb.28:                               ;   in Loop: Header=BB9_24 Depth=1
	v_and_b32_e32 v2, 0x1000000, v4
	v_cmp_eq_u64_e32 vcc, 0, v[2:3]
	v_cndmask_b32_e32 v2, v12, v13, vcc
	v_bfe_u32 v12, v4, 24, 1
	v_lshrrev_b64 v[4:5], v12, v[4:5]
; %bb.29:                               ;   in Loop: Header=BB9_24 Depth=1
	s_andn2_saveexec_b64 s[0:1], s[0:1]
	s_cbranch_execz .LBB9_20
; %bb.30:                               ;   in Loop: Header=BB9_24 Depth=1
	v_bfe_u32 v2, v4, 23, 1
	s_branch .LBB9_20
.LBB9_31:
	s_endpgm
	.section	.rodata,"a",@progbits
	.p2align	6, 0x0
	.amdhsa_kernel _ZN4vllm32rms_norm_static_fp8_quant_kernelIfN3c1015Float8_e4m3fnuzELi1EEEvPT0_PKT_iS7_PKffii
		.amdhsa_group_segment_fixed_size 68
		.amdhsa_private_segment_fixed_size 0
		.amdhsa_kernarg_size 312
		.amdhsa_user_sgpr_count 6
		.amdhsa_user_sgpr_private_segment_buffer 1
		.amdhsa_user_sgpr_dispatch_ptr 0
		.amdhsa_user_sgpr_queue_ptr 0
		.amdhsa_user_sgpr_kernarg_segment_ptr 1
		.amdhsa_user_sgpr_dispatch_id 0
		.amdhsa_user_sgpr_flat_scratch_init 0
		.amdhsa_user_sgpr_kernarg_preload_length 0
		.amdhsa_user_sgpr_kernarg_preload_offset 0
		.amdhsa_user_sgpr_private_segment_size 0
		.amdhsa_uses_dynamic_stack 0
		.amdhsa_system_sgpr_private_segment_wavefront_offset 0
		.amdhsa_system_sgpr_workgroup_id_x 1
		.amdhsa_system_sgpr_workgroup_id_y 0
		.amdhsa_system_sgpr_workgroup_id_z 0
		.amdhsa_system_sgpr_workgroup_info 0
		.amdhsa_system_vgpr_workitem_id 0
		.amdhsa_next_free_vgpr 16
		.amdhsa_next_free_sgpr 24
		.amdhsa_accum_offset 16
		.amdhsa_reserve_vcc 1
		.amdhsa_reserve_flat_scratch 0
		.amdhsa_float_round_mode_32 0
		.amdhsa_float_round_mode_16_64 0
		.amdhsa_float_denorm_mode_32 3
		.amdhsa_float_denorm_mode_16_64 3
		.amdhsa_dx10_clamp 1
		.amdhsa_ieee_mode 1
		.amdhsa_fp16_overflow 0
		.amdhsa_tg_split 0
		.amdhsa_exception_fp_ieee_invalid_op 0
		.amdhsa_exception_fp_denorm_src 0
		.amdhsa_exception_fp_ieee_div_zero 0
		.amdhsa_exception_fp_ieee_overflow 0
		.amdhsa_exception_fp_ieee_underflow 0
		.amdhsa_exception_fp_ieee_inexact 0
		.amdhsa_exception_int_div_zero 0
	.end_amdhsa_kernel
	.section	.text._ZN4vllm32rms_norm_static_fp8_quant_kernelIfN3c1015Float8_e4m3fnuzELi1EEEvPT0_PKT_iS7_PKffii,"axG",@progbits,_ZN4vllm32rms_norm_static_fp8_quant_kernelIfN3c1015Float8_e4m3fnuzELi1EEEvPT0_PKT_iS7_PKffii,comdat
.Lfunc_end9:
	.size	_ZN4vllm32rms_norm_static_fp8_quant_kernelIfN3c1015Float8_e4m3fnuzELi1EEEvPT0_PKT_iS7_PKffii, .Lfunc_end9-_ZN4vllm32rms_norm_static_fp8_quant_kernelIfN3c1015Float8_e4m3fnuzELi1EEEvPT0_PKT_iS7_PKffii
                                        ; -- End function
	.section	.AMDGPU.csdata,"",@progbits
; Kernel info:
; codeLenInByte = 1888
; NumSgprs: 28
; NumVgprs: 16
; NumAgprs: 0
; TotalNumVgprs: 16
; ScratchSize: 0
; MemoryBound: 0
; FloatMode: 240
; IeeeMode: 1
; LDSByteSize: 68 bytes/workgroup (compile time only)
; SGPRBlocks: 3
; VGPRBlocks: 1
; NumSGPRsForWavesPerEU: 28
; NumVGPRsForWavesPerEU: 16
; AccumOffset: 16
; Occupancy: 8
; WaveLimiterHint : 0
; COMPUTE_PGM_RSRC2:SCRATCH_EN: 0
; COMPUTE_PGM_RSRC2:USER_SGPR: 6
; COMPUTE_PGM_RSRC2:TRAP_HANDLER: 0
; COMPUTE_PGM_RSRC2:TGID_X_EN: 1
; COMPUTE_PGM_RSRC2:TGID_Y_EN: 0
; COMPUTE_PGM_RSRC2:TGID_Z_EN: 0
; COMPUTE_PGM_RSRC2:TIDIG_COMP_CNT: 0
; COMPUTE_PGM_RSRC3_GFX90A:ACCUM_OFFSET: 3
; COMPUTE_PGM_RSRC3_GFX90A:TG_SPLIT: 0
	.section	.text._ZN4vllm32rms_norm_static_fp8_quant_kernelIN3c104HalfENS1_13Float8_e4m3fnELi16EEEvPT0_PKT_iS8_PKffii,"axG",@progbits,_ZN4vllm32rms_norm_static_fp8_quant_kernelIN3c104HalfENS1_13Float8_e4m3fnELi16EEEvPT0_PKT_iS8_PKffii,comdat
	.protected	_ZN4vllm32rms_norm_static_fp8_quant_kernelIN3c104HalfENS1_13Float8_e4m3fnELi16EEEvPT0_PKT_iS8_PKffii ; -- Begin function _ZN4vllm32rms_norm_static_fp8_quant_kernelIN3c104HalfENS1_13Float8_e4m3fnELi16EEEvPT0_PKT_iS8_PKffii
	.globl	_ZN4vllm32rms_norm_static_fp8_quant_kernelIN3c104HalfENS1_13Float8_e4m3fnELi16EEEvPT0_PKT_iS8_PKffii
	.p2align	8
	.type	_ZN4vllm32rms_norm_static_fp8_quant_kernelIN3c104HalfENS1_13Float8_e4m3fnELi16EEEvPT0_PKT_iS8_PKffii,@function
_ZN4vllm32rms_norm_static_fp8_quant_kernelIN3c104HalfENS1_13Float8_e4m3fnELi16EEEvPT0_PKT_iS8_PKffii: ; @_ZN4vllm32rms_norm_static_fp8_quant_kernelIN3c104HalfENS1_13Float8_e4m3fnELi16EEEvPT0_PKT_iS8_PKffii
; %bb.0:
	s_load_dword s2, s[4:5], 0x10
	s_load_dwordx2 s[0:1], s[4:5], 0x8
	s_load_dword s7, s[4:5], 0x30
	s_load_dword s10, s[4:5], 0x44
	s_mov_b32 s9, 0
	s_waitcnt lgkmcnt(0)
	s_mul_i32 s8, s6, s2
	s_lshl_b64 s[2:3], s[8:9], 1
	s_add_u32 s18, s0, s2
	s_addc_u32 s19, s1, s3
	s_and_b32 s20, s10, 0xffff
	s_and_b32 s8, s18, 31
	s_cmp_lg_u64 s[8:9], 0
	s_cselect_b64 s[8:9], -1, 0
	s_and_b32 s10, s7, 15
	s_cmp_lg_u32 s10, 0
	s_cselect_b64 s[10:11], -1, 0
	s_or_b64 s[8:9], s[8:9], s[10:11]
	s_and_b64 vcc, exec, s[8:9]
	s_cbranch_vccz .LBB10_14
; %bb.1:
	s_sub_i32 s8, 0, s18
	s_bfe_u32 s8, s8, 0x40001
	s_min_i32 s8, s8, s7
	v_cmp_gt_i32_e32 vcc, s8, v0
	v_mov_b32_e32 v1, 0
	s_and_saveexec_b64 s[10:11], vcc
	s_cbranch_execz .LBB10_5
; %bb.2:
	s_add_u32 s9, s0, s2
	v_lshlrev_b32_e32 v1, 1, v0
	s_addc_u32 s12, s1, s3
	s_mov_b32 s14, 0
	v_mov_b32_e32 v3, s12
	v_add_co_u32_e32 v2, vcc, s9, v1
	v_addc_co_u32_e32 v3, vcc, 0, v3, vcc
	s_lshl_b32 s9, s20, 1
	s_mov_b64 s[12:13], 0
	v_mov_b32_e32 v1, 0
	v_mov_b32_e32 v4, s14
	;; [unrolled: 1-line block ×3, first 2 shown]
.LBB10_3:                               ; =>This Inner Loop Header: Depth=1
	global_load_ushort v6, v[2:3], off
	v_add_co_u32_e32 v2, vcc, s9, v2
	v_add_u32_e32 v5, s20, v5
	v_addc_co_u32_e32 v3, vcc, v3, v4, vcc
	v_cmp_le_i32_e32 vcc, s8, v5
	s_or_b64 s[12:13], vcc, s[12:13]
	s_waitcnt vmcnt(0)
	v_fma_mix_f32 v1, v6, v6, v1 op_sel_hi:[1,1,0]
	s_andn2_b64 exec, exec, s[12:13]
	s_cbranch_execnz .LBB10_3
; %bb.4:
	s_or_b64 exec, exec, s[12:13]
.LBB10_5:
	s_or_b64 exec, exec, s[10:11]
	s_sub_i32 s14, s7, s8
	s_ashr_i32 s10, s14, 31
	s_lshr_b32 s10, s10, 28
	s_add_i32 s10, s14, s10
	s_ashr_i32 s15, s10, 4
	s_ashr_i32 s9, s8, 31
	v_cmp_gt_i32_e32 vcc, s15, v0
	s_and_saveexec_b64 s[10:11], vcc
	s_cbranch_execz .LBB10_9
; %bb.6:
	s_lshl_b64 s[12:13], s[8:9], 1
	s_add_u32 s16, s0, s2
	s_addc_u32 s21, s1, s3
	s_add_u32 s12, s16, s12
	v_lshlrev_b32_e32 v2, 5, v0
	s_addc_u32 s13, s21, s13
	s_mov_b32 s17, 0
	v_mov_b32_e32 v3, s13
	v_add_co_u32_e32 v2, vcc, s12, v2
	v_addc_co_u32_e32 v3, vcc, 0, v3, vcc
	s_lshl_b32 s16, s20, 5
	s_mov_b64 s[12:13], 0
	v_mov_b32_e32 v4, s17
	v_mov_b32_e32 v5, v0
.LBB10_7:                               ; =>This Inner Loop Header: Depth=1
	global_load_dwordx4 v[6:9], v[2:3], off
	global_load_dwordx4 v[10:13], v[2:3], off offset:16
	v_add_co_u32_e32 v2, vcc, s16, v2
	v_add_u32_e32 v5, s20, v5
	v_addc_co_u32_e32 v3, vcc, v3, v4, vcc
	v_cmp_le_i32_e32 vcc, s15, v5
	s_or_b64 s[12:13], vcc, s[12:13]
	s_waitcnt vmcnt(1)
	v_fma_mix_f32 v1, v6, v6, v1 op_sel_hi:[1,1,0]
	v_fma_mix_f32 v1, v6, v6, v1 op_sel:[1,1,0] op_sel_hi:[1,1,0]
	v_fma_mix_f32 v1, v7, v7, v1 op_sel_hi:[1,1,0]
	v_fma_mix_f32 v1, v7, v7, v1 op_sel:[1,1,0] op_sel_hi:[1,1,0]
	;; [unrolled: 2-line block ×4, first 2 shown]
	s_waitcnt vmcnt(0)
	v_fma_mix_f32 v1, v10, v10, v1 op_sel_hi:[1,1,0]
	v_fma_mix_f32 v1, v10, v10, v1 op_sel:[1,1,0] op_sel_hi:[1,1,0]
	v_fma_mix_f32 v1, v11, v11, v1 op_sel_hi:[1,1,0]
	v_fma_mix_f32 v1, v11, v11, v1 op_sel:[1,1,0] op_sel_hi:[1,1,0]
	;; [unrolled: 2-line block ×4, first 2 shown]
	s_andn2_b64 exec, exec, s[12:13]
	s_cbranch_execnz .LBB10_7
; %bb.8:
	s_or_b64 exec, exec, s[12:13]
.LBB10_9:
	s_or_b64 exec, exec, s[10:11]
	v_lshl_add_u32 v2, s15, 4, v0
	v_cmp_gt_i32_e32 vcc, s14, v2
	s_and_saveexec_b64 s[10:11], vcc
	s_cbranch_execz .LBB10_13
; %bb.10:
	s_lshl_b64 s[8:9], s[8:9], 1
	s_add_u32 s12, s0, s2
	s_addc_u32 s13, s1, s3
	v_ashrrev_i32_e32 v3, 31, v2
	s_add_u32 s8, s12, s8
	v_lshlrev_b64 v[4:5], 1, v[2:3]
	s_addc_u32 s9, s13, s9
	v_mov_b32_e32 v3, s9
	v_add_co_u32_e32 v4, vcc, s8, v4
	s_mov_b32 s13, 0
	v_addc_co_u32_e32 v5, vcc, v3, v5, vcc
	s_lshl_b32 s12, s20, 1
	s_mov_b64 s[8:9], 0
	v_mov_b32_e32 v3, s13
.LBB10_11:                              ; =>This Inner Loop Header: Depth=1
	global_load_ushort v6, v[4:5], off
	v_add_co_u32_e32 v4, vcc, s12, v4
	v_add_u32_e32 v2, s20, v2
	v_addc_co_u32_e32 v5, vcc, v5, v3, vcc
	v_cmp_le_i32_e32 vcc, s14, v2
	s_or_b64 s[8:9], vcc, s[8:9]
	s_waitcnt vmcnt(0)
	v_fma_mix_f32 v1, v6, v6, v1 op_sel_hi:[1,1,0]
	s_andn2_b64 exec, exec, s[8:9]
	s_cbranch_execnz .LBB10_11
; %bb.12:
	s_or_b64 exec, exec, s[8:9]
.LBB10_13:
	s_or_b64 exec, exec, s[10:11]
	s_branch .LBB10_20
.LBB10_14:
                                        ; implicit-def: $vgpr1
	s_cbranch_execz .LBB10_20
; %bb.15:
	s_ashr_i32 s10, s7, 4
	v_cmp_gt_i32_e32 vcc, s10, v0
	v_mov_b32_e32 v1, 0
	s_and_saveexec_b64 s[8:9], vcc
	s_cbranch_execz .LBB10_19
; %bb.16:
	s_add_u32 s0, s0, s2
	v_lshlrev_b32_e32 v1, 5, v0
	s_addc_u32 s1, s1, s3
	s_mov_b32 s11, 0
	v_mov_b32_e32 v3, s1
	v_add_co_u32_e32 v2, vcc, s0, v1
	v_addc_co_u32_e32 v3, vcc, 0, v3, vcc
	s_lshl_b32 s2, s20, 5
	s_mov_b64 s[0:1], 0
	v_mov_b32_e32 v1, 0
	v_mov_b32_e32 v4, s11
	;; [unrolled: 1-line block ×3, first 2 shown]
.LBB10_17:                              ; =>This Inner Loop Header: Depth=1
	global_load_dwordx4 v[6:9], v[2:3], off
	global_load_dwordx4 v[10:13], v[2:3], off offset:16
	v_add_co_u32_e32 v2, vcc, s2, v2
	v_add_u32_e32 v5, s20, v5
	v_addc_co_u32_e32 v3, vcc, v3, v4, vcc
	v_cmp_le_i32_e32 vcc, s10, v5
	s_or_b64 s[0:1], vcc, s[0:1]
	s_waitcnt vmcnt(1)
	v_fma_mix_f32 v1, v6, v6, v1 op_sel_hi:[1,1,0]
	v_fma_mix_f32 v1, v6, v6, v1 op_sel:[1,1,0] op_sel_hi:[1,1,0]
	v_fma_mix_f32 v1, v7, v7, v1 op_sel_hi:[1,1,0]
	v_fma_mix_f32 v1, v7, v7, v1 op_sel:[1,1,0] op_sel_hi:[1,1,0]
	;; [unrolled: 2-line block ×4, first 2 shown]
	s_waitcnt vmcnt(0)
	v_fma_mix_f32 v1, v10, v10, v1 op_sel_hi:[1,1,0]
	v_fma_mix_f32 v1, v10, v10, v1 op_sel:[1,1,0] op_sel_hi:[1,1,0]
	v_fma_mix_f32 v1, v11, v11, v1 op_sel_hi:[1,1,0]
	v_fma_mix_f32 v1, v11, v11, v1 op_sel:[1,1,0] op_sel_hi:[1,1,0]
	;; [unrolled: 2-line block ×4, first 2 shown]
	s_andn2_b64 exec, exec, s[0:1]
	s_cbranch_execnz .LBB10_17
; %bb.18:
	s_or_b64 exec, exec, s[0:1]
.LBB10_19:
	s_or_b64 exec, exec, s[8:9]
.LBB10_20:
	v_mbcnt_lo_u32_b32 v2, -1, 0
	v_mbcnt_hi_u32_b32 v2, -1, v2
	v_and_b32_e32 v3, 63, v2
	v_cmp_ne_u32_e32 vcc, 63, v3
	v_addc_co_u32_e32 v4, vcc, 0, v2, vcc
	v_lshlrev_b32_e32 v4, 2, v4
	ds_bpermute_b32 v4, v4, v1
	v_and_b32_e32 v5, 0x3c0, v0
	v_sub_u32_e64 v5, s20, v5 clamp
	v_add_u32_e32 v6, 1, v2
	v_cmp_lt_u32_e32 vcc, v6, v5
	s_waitcnt lgkmcnt(0)
	v_add_f32_e32 v4, v1, v4
	v_cndmask_b32_e32 v1, v1, v4, vcc
	v_cmp_gt_u32_e32 vcc, 62, v3
	v_cndmask_b32_e64 v4, 0, 1, vcc
	v_lshlrev_b32_e32 v4, 1, v4
	v_add_lshl_u32 v4, v4, v2, 2
	ds_bpermute_b32 v4, v4, v1
	v_add_u32_e32 v6, 2, v2
	v_cmp_lt_u32_e32 vcc, v6, v5
	v_add_u32_e32 v6, 4, v2
	s_waitcnt lgkmcnt(0)
	v_add_f32_e32 v4, v1, v4
	v_cndmask_b32_e32 v1, v1, v4, vcc
	v_cmp_gt_u32_e32 vcc, 60, v3
	v_cndmask_b32_e64 v4, 0, 1, vcc
	v_lshlrev_b32_e32 v4, 2, v4
	v_add_lshl_u32 v4, v4, v2, 2
	ds_bpermute_b32 v4, v4, v1
	v_cmp_lt_u32_e32 vcc, v6, v5
	v_add_u32_e32 v6, 8, v2
	s_waitcnt lgkmcnt(0)
	v_add_f32_e32 v4, v1, v4
	v_cndmask_b32_e32 v1, v1, v4, vcc
	v_cmp_gt_u32_e32 vcc, 56, v3
	v_cndmask_b32_e64 v4, 0, 1, vcc
	v_lshlrev_b32_e32 v4, 3, v4
	v_add_lshl_u32 v4, v4, v2, 2
	ds_bpermute_b32 v4, v4, v1
	;; [unrolled: 10-line block ×3, first 2 shown]
	v_cmp_lt_u32_e32 vcc, v6, v5
	s_waitcnt lgkmcnt(0)
	v_add_f32_e32 v4, v1, v4
	v_cndmask_b32_e32 v1, v1, v4, vcc
	v_cmp_gt_u32_e32 vcc, 32, v3
	v_cndmask_b32_e64 v3, 0, 1, vcc
	v_lshlrev_b32_e32 v3, 5, v3
	v_add_lshl_u32 v3, v3, v2, 2
	ds_bpermute_b32 v3, v3, v1
	v_add_u32_e32 v4, 32, v2
	v_cmp_lt_u32_e32 vcc, v4, v5
	s_waitcnt lgkmcnt(0)
	v_add_f32_e32 v3, v1, v3
	v_cndmask_b32_e32 v1, v1, v3, vcc
	v_cmp_eq_u32_e32 vcc, 0, v2
	s_and_saveexec_b64 s[0:1], vcc
	s_cbranch_execz .LBB10_22
; %bb.21:
	v_lshrrev_b32_e32 v3, 4, v0
	v_and_b32_e32 v3, 60, v3
	ds_write_b32 v3, v1
.LBB10_22:
	s_or_b64 exec, exec, s[0:1]
	v_cmp_gt_u32_e32 vcc, 16, v0
	s_waitcnt lgkmcnt(0)
	s_barrier
	s_and_saveexec_b64 s[2:3], vcc
	s_cbranch_execz .LBB10_24
; %bb.23:
	v_lshlrev_b32_e32 v1, 2, v2
	ds_read_b32 v1, v1
	v_and_b32_e32 v3, 15, v2
	v_cmp_ne_u32_e32 vcc, 15, v3
	v_addc_co_u32_e32 v4, vcc, 0, v2, vcc
	v_lshlrev_b32_e32 v4, 2, v4
	s_waitcnt lgkmcnt(0)
	ds_bpermute_b32 v4, v4, v1
	s_add_i32 s0, s20, 63
	s_lshr_b32 s8, s0, 6
	v_add_u32_e32 v5, 1, v3
	v_cmp_gt_u32_e64 s[0:1], 14, v3
	v_cmp_gt_u32_e32 vcc, s8, v5
	v_cndmask_b32_e64 v5, 0, 1, s[0:1]
	s_waitcnt lgkmcnt(0)
	v_add_f32_e32 v4, v1, v4
	v_lshlrev_b32_e32 v5, 1, v5
	v_cndmask_b32_e32 v4, v1, v4, vcc
	v_add_lshl_u32 v5, v5, v2, 2
	ds_bpermute_b32 v5, v5, v4
	v_add_u32_e32 v6, 2, v3
	v_cmp_gt_u32_e64 s[0:1], s8, v6
	v_add_u32_e32 v6, 4, v3
	s_waitcnt lgkmcnt(0)
	v_add_f32_e32 v5, v4, v5
	v_cndmask_b32_e64 v4, v4, v5, s[0:1]
	v_cmp_gt_u32_e64 s[0:1], 12, v3
	v_cndmask_b32_e64 v5, 0, 1, s[0:1]
	v_lshlrev_b32_e32 v5, 2, v5
	v_add_lshl_u32 v5, v5, v2, 2
	ds_bpermute_b32 v5, v5, v4
	v_cmp_gt_u32_e64 s[0:1], s8, v6
	s_waitcnt lgkmcnt(0)
	v_add_f32_e32 v5, v4, v5
	v_cndmask_b32_e64 v4, v4, v5, s[0:1]
	v_cmp_gt_u32_e64 s[0:1], 8, v3
	v_cndmask_b32_e64 v5, 0, 1, s[0:1]
	v_lshlrev_b32_e32 v5, 3, v5
	v_add_lshl_u32 v2, v5, v2, 2
	ds_bpermute_b32 v2, v2, v4
	v_add_u32_e32 v3, 8, v3
	v_cmp_gt_u32_e64 s[0:1], s8, v3
	s_waitcnt lgkmcnt(0)
	v_add_f32_e32 v2, v4, v2
	v_cndmask_b32_e64 v2, v4, v2, s[0:1]
	v_cndmask_b32_e32 v1, v1, v2, vcc
.LBB10_24:
	s_or_b64 exec, exec, s[2:3]
	v_cmp_eq_u32_e32 vcc, 0, v0
	s_and_saveexec_b64 s[0:1], vcc
	s_cbranch_execz .LBB10_26
; %bb.25:
	v_cvt_f32_i32_e32 v2, s7
	s_load_dword s8, s[4:5], 0x28
	v_div_scale_f32 v3, s[2:3], v2, v2, v1
	v_rcp_f32_e32 v4, v3
	v_div_scale_f32 v5, vcc, v1, v2, v1
	s_mov_b32 s2, 0x800000
	v_fma_f32 v6, -v3, v4, 1.0
	v_fmac_f32_e32 v4, v6, v4
	v_mul_f32_e32 v6, v5, v4
	v_fma_f32 v7, -v3, v6, v5
	v_fmac_f32_e32 v6, v7, v4
	v_fma_f32 v3, -v3, v6, v5
	v_div_fmas_f32 v3, v3, v4, v6
	v_div_fixup_f32 v1, v3, v2, v1
	s_waitcnt lgkmcnt(0)
	v_add_f32_e32 v1, s8, v1
	v_mul_f32_e32 v2, 0x4b800000, v1
	v_cmp_gt_f32_e32 vcc, s2, v1
	v_cndmask_b32_e32 v1, v1, v2, vcc
	v_rsq_f32_e32 v1, v1
	v_mul_f32_e32 v2, 0x45800000, v1
	v_cndmask_b32_e32 v1, v1, v2, vcc
	v_mov_b32_e32 v2, 0
	ds_write_b32 v2, v1 offset:64
.LBB10_26:
	s_or_b64 exec, exec, s[0:1]
	s_ashr_i32 s0, s7, 31
	s_lshr_b32 s0, s0, 28
	s_add_i32 s0, s7, s0
	s_ashr_i32 s21, s0, 4
	v_cmp_gt_i32_e32 vcc, s21, v0
	s_waitcnt lgkmcnt(0)
	s_barrier
	s_and_saveexec_b64 s[0:1], vcc
	s_cbranch_execz .LBB10_285
; %bb.27:
	s_load_dwordx4 s[8:11], s[4:5], 0x18
	s_load_dwordx2 s[2:3], s[4:5], 0x0
	v_mov_b32_e32 v19, 0
	ds_read_b32 v1, v19 offset:64
	s_mul_i32 s6, s6, s7
	s_waitcnt lgkmcnt(0)
	s_load_dword s4, s[10:11], 0x0
	s_lshl_b32 s22, s20, 4
	v_lshlrev_b32_e32 v20, 5, v0
	v_lshl_add_u32 v21, v0, 4, s6
	s_lshl_b32 s23, s20, 5
	s_waitcnt lgkmcnt(0)
	v_div_scale_f32 v2, s[0:1], s4, s4, 1.0
	v_rcp_f32_e32 v3, v2
	v_div_scale_f32 v4, vcc, 1.0, s4, 1.0
	s_movk_i32 s24, 0x80
	v_fma_f32 v5, -v2, v3, 1.0
	v_fmac_f32_e32 v3, v5, v3
	v_mul_f32_e32 v5, v4, v3
	v_fma_f32 v6, -v2, v5, v4
	v_fmac_f32_e32 v5, v6, v3
	v_fma_f32 v2, -v2, v5, v4
	v_div_fmas_f32 v2, v2, v3, v5
	v_div_fixup_f32 v24, v2, s4, 1.0
	s_mov_b64 s[4:5], 0
	s_mov_b64 s[6:7], 0x7f800000
	;; [unrolled: 1-line block ×3, first 2 shown]
	s_movk_i32 s25, 0x79
	s_movk_i32 s26, 0x7f
	v_mov_b32_e32 v25, 0x78
	v_mov_b32_e32 v26, 0xffffff89
	s_branch .LBB10_29
.LBB10_28:                              ;   in Loop: Header=BB10_29 Depth=1
	s_or_b64 exec, exec, s[0:1]
	s_add_u32 s8, s8, s23
	s_addc_u32 s9, s9, 0
	v_add_u32_e32 v0, s20, v0
	s_add_u32 s18, s18, s23
	s_addc_u32 s19, s19, 0
	v_cmp_le_i32_e32 vcc, s21, v0
	v_add_u32_e32 v2, 15, v21
	s_or_b64 s[4:5], vcc, s[4:5]
	v_add_u32_e32 v21, s22, v21
	global_store_byte v2, v3, s[2:3]
	s_andn2_b64 exec, exec, s[4:5]
	s_cbranch_execz .LBB10_285
.LBB10_29:                              ; =>This Inner Loop Header: Depth=1
	v_mov_b32_e32 v2, s19
	v_add_co_u32_e32 v22, vcc, s18, v20
	v_addc_co_u32_e32 v23, vcc, 0, v2, vcc
	v_mov_b32_e32 v2, s9
	v_add_co_u32_e32 v28, vcc, s8, v20
	v_addc_co_u32_e32 v29, vcc, 0, v2, vcc
	global_load_dwordx4 v[10:13], v[22:23], off
	global_load_dwordx4 v[14:17], v[28:29], off
	global_load_dwordx4 v[2:5], v[22:23], off offset:16
	global_load_dwordx4 v[6:9], v[28:29], off offset:16
	v_mov_b32_e32 v29, v19
	s_waitcnt vmcnt(3)
	v_fma_mixlo_f16 v18, v1, v10, 0 op_sel_hi:[0,1,0]
	s_waitcnt vmcnt(2)
	v_mul_f16_e32 v18, v14, v18
	v_cvt_f32_f16_e32 v18, v18
	v_mul_f32_e32 v18, v24, v18
	v_min_f32_e32 v18, 0x43e00000, v18
	v_max_f32_e32 v22, 0xc3e00000, v18
	v_and_b32_sdwa v27, v22, s24 dst_sel:DWORD dst_unused:UNUSED_PAD src0_sel:BYTE_3 src1_sel:DWORD
	v_and_b32_e32 v28, 0x7f800000, v22
	v_and_b32_e32 v18, 0x7fffff, v22
	v_or_b32_e32 v23, 0x7e, v27
	v_cmp_ne_u64_e32 vcc, s[6:7], v[28:29]
	s_and_saveexec_b64 s[0:1], vcc
	s_xor_b64 s[12:13], exec, s[0:1]
	s_cbranch_execz .LBB10_43
; %bb.30:                               ;   in Loop: Header=BB10_29 Depth=1
	v_and_b32_e32 v28, 0x7fffffff, v22
	v_mov_b32_e32 v29, v19
	v_cmp_gt_u64_e32 vcc, s[10:11], v[28:29]
	s_and_saveexec_b64 s[0:1], vcc
	s_xor_b64 s[14:15], exec, s[0:1]
	s_cbranch_execz .LBB10_42
; %bb.31:                               ;   in Loop: Header=BB10_29 Depth=1
	v_cmp_ne_u32_e32 vcc, 0, v22
	v_mov_b32_e32 v23, 0
	s_and_saveexec_b64 s[16:17], vcc
	s_cbranch_execz .LBB10_41
; %bb.32:                               ;   in Loop: Header=BB10_29 Depth=1
	v_bfe_u32 v22, v22, 23, 8
	v_sub_u32_e64 v23, s25, v22 clamp
	v_cmp_eq_u32_e32 vcc, 0, v22
	v_cndmask_b32_e32 v31, v23, v25, vcc
	v_add_u32_e32 v30, 0xffffff88, v22
	v_add_u32_e32 v22, 20, v31
	v_or_b32_e32 v28, 0x800000, v18
	v_lshlrev_b64 v[22:23], v22, -1
	v_cndmask_b32_e32 v18, v28, v18, vcc
	v_not_b32_e32 v23, v23
	v_not_b32_e32 v22, v22
	v_add_u32_e32 v28, 19, v31
	v_and_b32_e32 v23, 0, v23
	v_and_b32_e32 v22, v18, v22
	v_lshlrev_b64 v[28:29], v28, 1
	v_cmp_eq_u64_e64 s[0:1], v[22:23], v[28:29]
	s_waitcnt vmcnt(0) expcnt(0) lgkmcnt(0)
	v_swap_b32 v0, v31
	v_lshrrev_b64 v[22:23], v0, v[18:19]
	v_swap_b32 v31, v0
	v_cndmask_b32_e32 v18, v30, v26, vcc
	v_lshrrev_b32_e32 v28, 23, v22
	v_add3_u32 v28, v18, v31, v28
	v_and_b32_e32 v18, 0x100000, v22
	v_cmp_eq_u64_e32 vcc, 0, v[18:19]
	s_and_b64 vcc, vcc, s[0:1]
	v_subbrev_co_u32_e32 v18, vcc, 0, v22, vcc
	v_and_b32_e32 v18, 0xfffff, v18
	v_add_co_u32_e32 v22, vcc, v18, v22
	v_add_u32_e32 v29, -1, v28
	v_addc_co_u32_e32 v23, vcc, 0, v23, vcc
	v_cmp_ne_u32_e32 vcc, 0, v29
                                        ; implicit-def: $vgpr18
	s_and_saveexec_b64 s[0:1], vcc
	s_xor_b64 s[0:1], exec, s[0:1]
; %bb.33:                               ;   in Loop: Header=BB10_29 Depth=1
	v_and_b32_e32 v18, 0x1000000, v22
	v_cmp_eq_u64_e32 vcc, 0, v[18:19]
	v_cndmask_b32_e32 v18, v28, v29, vcc
	v_bfe_u32 v28, v22, 24, 1
	v_lshrrev_b64 v[22:23], v28, v[22:23]
; %bb.34:                               ;   in Loop: Header=BB10_29 Depth=1
	s_andn2_saveexec_b64 s[0:1], s[0:1]
; %bb.35:                               ;   in Loop: Header=BB10_29 Depth=1
	v_bfe_u32 v18, v22, 23, 1
; %bb.36:                               ;   in Loop: Header=BB10_29 Depth=1
	s_or_b64 exec, exec, s[0:1]
	v_lshrrev_b64 v[22:23], 20, v[22:23]
	v_cmp_gt_i32_e32 vcc, 16, v18
	v_cndmask_b32_e32 v23, 0, v23, vcc
	v_cndmask_b32_e32 v22, 7, v22, vcc
	v_cmp_ne_u32_e32 vcc, 0, v18
	v_cmp_ne_u64_e64 s[0:1], 0, v[22:23]
	s_or_b64 s[0:1], vcc, s[0:1]
                                        ; implicit-def: $vgpr23
	s_and_saveexec_b64 s[28:29], s[0:1]
	s_xor_b64 s[0:1], exec, s[28:29]
; %bb.37:                               ;   in Loop: Header=BB10_29 Depth=1
	v_min_i32_e32 v18, 15, v18
	v_lshl_or_b32 v18, v18, 3, v27
	v_and_or_b32 v23, v22, 7, v18
                                        ; implicit-def: $vgpr27
; %bb.38:                               ;   in Loop: Header=BB10_29 Depth=1
	s_andn2_saveexec_b64 s[0:1], s[0:1]
; %bb.39:                               ;   in Loop: Header=BB10_29 Depth=1
	v_mov_b32_e32 v23, v27
; %bb.40:                               ;   in Loop: Header=BB10_29 Depth=1
	s_or_b64 exec, exec, s[0:1]
.LBB10_41:                              ;   in Loop: Header=BB10_29 Depth=1
	s_or_b64 exec, exec, s[16:17]
.LBB10_42:                              ;   in Loop: Header=BB10_29 Depth=1
	s_andn2_saveexec_b64 s[0:1], s[14:15]
	s_or_b64 exec, exec, s[0:1]
                                        ; implicit-def: $vgpr22
.LBB10_43:                              ;   in Loop: Header=BB10_29 Depth=1
	s_andn2_saveexec_b64 s[0:1], s[12:13]
; %bb.44:                               ;   in Loop: Header=BB10_29 Depth=1
	v_or_b32_sdwa v22, v22, s26 dst_sel:DWORD dst_unused:UNUSED_PAD src0_sel:BYTE_3 src1_sel:DWORD
	v_cmp_eq_u64_e32 vcc, 0, v[18:19]
	v_cndmask_b32_e32 v23, v22, v23, vcc
; %bb.45:                               ;   in Loop: Header=BB10_29 Depth=1
	s_or_b64 exec, exec, s[0:1]
	v_fma_mixlo_f16 v10, v1, v10, 0 op_sel:[0,1,0] op_sel_hi:[0,1,0]
	v_mul_f16_sdwa v10, v14, v10 dst_sel:DWORD dst_unused:UNUSED_PAD src0_sel:WORD_1 src1_sel:DWORD
	v_cvt_f32_f16_e32 v10, v10
	v_mov_b32_e32 v29, v19
	global_store_byte v21, v23, s[2:3]
	v_mul_f32_e32 v10, v24, v10
	v_min_f32_e32 v10, 0x43e00000, v10
	v_max_f32_e32 v22, 0xc3e00000, v10
	v_and_b32_sdwa v10, v22, s24 dst_sel:DWORD dst_unused:UNUSED_PAD src0_sel:BYTE_3 src1_sel:DWORD
	v_and_b32_e32 v28, 0x7f800000, v22
	v_and_b32_e32 v18, 0x7fffff, v22
	v_or_b32_e32 v14, 0x7e, v10
	v_cmp_ne_u64_e32 vcc, s[6:7], v[28:29]
	s_and_saveexec_b64 s[0:1], vcc
	s_xor_b64 s[12:13], exec, s[0:1]
	s_cbranch_execz .LBB10_59
; %bb.46:                               ;   in Loop: Header=BB10_29 Depth=1
	v_and_b32_e32 v28, 0x7fffffff, v22
	v_mov_b32_e32 v29, v19
	v_cmp_gt_u64_e32 vcc, s[10:11], v[28:29]
	s_and_saveexec_b64 s[0:1], vcc
	s_xor_b64 s[14:15], exec, s[0:1]
	s_cbranch_execz .LBB10_58
; %bb.47:                               ;   in Loop: Header=BB10_29 Depth=1
	v_cmp_ne_u32_e32 vcc, 0, v22
	v_mov_b32_e32 v14, 0
	s_and_saveexec_b64 s[16:17], vcc
	s_cbranch_execz .LBB10_57
; %bb.48:                               ;   in Loop: Header=BB10_29 Depth=1
	v_bfe_u32 v14, v22, 23, 8
	v_sub_u32_e64 v22, s25, v14 clamp
	v_cmp_eq_u32_e32 vcc, 0, v14
	v_add_u32_e32 v27, 0xffffff88, v14
	v_cndmask_b32_e32 v14, v22, v25, vcc
	v_or_b32_e32 v23, 0x800000, v18
	v_add_u32_e32 v22, 20, v14
	v_cndmask_b32_e32 v18, v23, v18, vcc
	v_lshlrev_b64 v[22:23], v22, -1
	v_not_b32_e32 v23, v23
	v_not_b32_e32 v22, v22
	v_add_u32_e32 v28, 19, v14
	v_and_b32_e32 v23, 0, v23
	v_and_b32_e32 v22, v18, v22
	v_lshlrev_b64 v[28:29], v28, 1
	v_cmp_eq_u64_e64 s[0:1], v[22:23], v[28:29]
	v_lshrrev_b64 v[22:23], v14, v[18:19]
	v_cndmask_b32_e32 v18, v27, v26, vcc
	v_lshrrev_b32_e32 v27, 23, v22
	v_add3_u32 v14, v18, v14, v27
	v_and_b32_e32 v18, 0x100000, v22
	v_cmp_eq_u64_e32 vcc, 0, v[18:19]
	s_and_b64 vcc, vcc, s[0:1]
	v_subbrev_co_u32_e32 v18, vcc, 0, v22, vcc
	v_and_b32_e32 v18, 0xfffff, v18
	v_add_co_u32_e32 v22, vcc, v18, v22
	v_add_u32_e32 v27, -1, v14
	v_addc_co_u32_e32 v23, vcc, 0, v23, vcc
	v_cmp_ne_u32_e32 vcc, 0, v27
                                        ; implicit-def: $vgpr18
	s_and_saveexec_b64 s[0:1], vcc
	s_xor_b64 s[0:1], exec, s[0:1]
; %bb.49:                               ;   in Loop: Header=BB10_29 Depth=1
	v_and_b32_e32 v18, 0x1000000, v22
	v_cmp_eq_u64_e32 vcc, 0, v[18:19]
	v_cndmask_b32_e32 v18, v14, v27, vcc
	v_bfe_u32 v14, v22, 24, 1
	v_lshrrev_b64 v[22:23], v14, v[22:23]
; %bb.50:                               ;   in Loop: Header=BB10_29 Depth=1
	s_andn2_saveexec_b64 s[0:1], s[0:1]
; %bb.51:                               ;   in Loop: Header=BB10_29 Depth=1
	v_bfe_u32 v18, v22, 23, 1
; %bb.52:                               ;   in Loop: Header=BB10_29 Depth=1
	s_or_b64 exec, exec, s[0:1]
	v_lshrrev_b64 v[22:23], 20, v[22:23]
	v_cmp_gt_i32_e32 vcc, 16, v18
	v_cndmask_b32_e32 v23, 0, v23, vcc
	v_cndmask_b32_e32 v22, 7, v22, vcc
	v_cmp_ne_u32_e32 vcc, 0, v18
	v_cmp_ne_u64_e64 s[0:1], 0, v[22:23]
	s_or_b64 s[0:1], vcc, s[0:1]
                                        ; implicit-def: $vgpr14
	s_and_saveexec_b64 s[28:29], s[0:1]
	s_xor_b64 s[0:1], exec, s[28:29]
; %bb.53:                               ;   in Loop: Header=BB10_29 Depth=1
	v_min_i32_e32 v14, 15, v18
	v_lshl_or_b32 v10, v14, 3, v10
	v_and_or_b32 v14, v22, 7, v10
                                        ; implicit-def: $vgpr10
; %bb.54:                               ;   in Loop: Header=BB10_29 Depth=1
	s_andn2_saveexec_b64 s[0:1], s[0:1]
; %bb.55:                               ;   in Loop: Header=BB10_29 Depth=1
	v_mov_b32_e32 v14, v10
; %bb.56:                               ;   in Loop: Header=BB10_29 Depth=1
	s_or_b64 exec, exec, s[0:1]
.LBB10_57:                              ;   in Loop: Header=BB10_29 Depth=1
	s_or_b64 exec, exec, s[16:17]
.LBB10_58:                              ;   in Loop: Header=BB10_29 Depth=1
	s_andn2_saveexec_b64 s[0:1], s[14:15]
	s_or_b64 exec, exec, s[0:1]
                                        ; implicit-def: $vgpr22
.LBB10_59:                              ;   in Loop: Header=BB10_29 Depth=1
	s_andn2_saveexec_b64 s[0:1], s[12:13]
; %bb.60:                               ;   in Loop: Header=BB10_29 Depth=1
	v_or_b32_sdwa v10, v22, s26 dst_sel:DWORD dst_unused:UNUSED_PAD src0_sel:BYTE_3 src1_sel:DWORD
	v_cmp_eq_u64_e32 vcc, 0, v[18:19]
	v_cndmask_b32_e32 v14, v10, v14, vcc
; %bb.61:                               ;   in Loop: Header=BB10_29 Depth=1
	s_or_b64 exec, exec, s[0:1]
	v_fma_mixlo_f16 v10, v1, v11, 0 op_sel_hi:[0,1,0]
	v_mul_f16_e32 v10, v15, v10
	v_cvt_f32_f16_e32 v10, v10
	v_add_u32_e32 v18, 1, v21
	v_mov_b32_e32 v29, v19
	global_store_byte v18, v14, s[2:3]
	v_mul_f32_e32 v10, v24, v10
	v_min_f32_e32 v10, 0x43e00000, v10
	v_max_f32_e32 v22, 0xc3e00000, v10
	v_and_b32_sdwa v10, v22, s24 dst_sel:DWORD dst_unused:UNUSED_PAD src0_sel:BYTE_3 src1_sel:DWORD
	v_and_b32_e32 v28, 0x7f800000, v22
	v_and_b32_e32 v18, 0x7fffff, v22
	v_or_b32_e32 v14, 0x7e, v10
	v_cmp_ne_u64_e32 vcc, s[6:7], v[28:29]
	s_and_saveexec_b64 s[0:1], vcc
	s_xor_b64 s[12:13], exec, s[0:1]
	s_cbranch_execz .LBB10_75
; %bb.62:                               ;   in Loop: Header=BB10_29 Depth=1
	v_and_b32_e32 v28, 0x7fffffff, v22
	v_mov_b32_e32 v29, v19
	v_cmp_gt_u64_e32 vcc, s[10:11], v[28:29]
	s_and_saveexec_b64 s[0:1], vcc
	s_xor_b64 s[14:15], exec, s[0:1]
	s_cbranch_execz .LBB10_74
; %bb.63:                               ;   in Loop: Header=BB10_29 Depth=1
	v_cmp_ne_u32_e32 vcc, 0, v22
	v_mov_b32_e32 v14, 0
	s_and_saveexec_b64 s[16:17], vcc
	s_cbranch_execz .LBB10_73
; %bb.64:                               ;   in Loop: Header=BB10_29 Depth=1
	v_bfe_u32 v14, v22, 23, 8
	v_sub_u32_e64 v22, s25, v14 clamp
	v_cmp_eq_u32_e32 vcc, 0, v14
	v_add_u32_e32 v27, 0xffffff88, v14
	v_cndmask_b32_e32 v14, v22, v25, vcc
	v_or_b32_e32 v23, 0x800000, v18
	v_add_u32_e32 v22, 20, v14
	v_cndmask_b32_e32 v18, v23, v18, vcc
	v_lshlrev_b64 v[22:23], v22, -1
	v_not_b32_e32 v23, v23
	v_not_b32_e32 v22, v22
	v_add_u32_e32 v28, 19, v14
	v_and_b32_e32 v23, 0, v23
	v_and_b32_e32 v22, v18, v22
	v_lshlrev_b64 v[28:29], v28, 1
	v_cmp_eq_u64_e64 s[0:1], v[22:23], v[28:29]
	v_lshrrev_b64 v[22:23], v14, v[18:19]
	v_cndmask_b32_e32 v18, v27, v26, vcc
	v_lshrrev_b32_e32 v27, 23, v22
	v_add3_u32 v14, v18, v14, v27
	v_and_b32_e32 v18, 0x100000, v22
	v_cmp_eq_u64_e32 vcc, 0, v[18:19]
	s_and_b64 vcc, vcc, s[0:1]
	v_subbrev_co_u32_e32 v18, vcc, 0, v22, vcc
	v_and_b32_e32 v18, 0xfffff, v18
	v_add_co_u32_e32 v22, vcc, v18, v22
	v_add_u32_e32 v27, -1, v14
	v_addc_co_u32_e32 v23, vcc, 0, v23, vcc
	v_cmp_ne_u32_e32 vcc, 0, v27
                                        ; implicit-def: $vgpr18
	s_and_saveexec_b64 s[0:1], vcc
	s_xor_b64 s[0:1], exec, s[0:1]
; %bb.65:                               ;   in Loop: Header=BB10_29 Depth=1
	v_and_b32_e32 v18, 0x1000000, v22
	v_cmp_eq_u64_e32 vcc, 0, v[18:19]
	v_cndmask_b32_e32 v18, v14, v27, vcc
	v_bfe_u32 v14, v22, 24, 1
	v_lshrrev_b64 v[22:23], v14, v[22:23]
; %bb.66:                               ;   in Loop: Header=BB10_29 Depth=1
	s_andn2_saveexec_b64 s[0:1], s[0:1]
; %bb.67:                               ;   in Loop: Header=BB10_29 Depth=1
	v_bfe_u32 v18, v22, 23, 1
; %bb.68:                               ;   in Loop: Header=BB10_29 Depth=1
	s_or_b64 exec, exec, s[0:1]
	v_lshrrev_b64 v[22:23], 20, v[22:23]
	v_cmp_gt_i32_e32 vcc, 16, v18
	v_cndmask_b32_e32 v23, 0, v23, vcc
	v_cndmask_b32_e32 v22, 7, v22, vcc
	v_cmp_ne_u32_e32 vcc, 0, v18
	v_cmp_ne_u64_e64 s[0:1], 0, v[22:23]
	s_or_b64 s[0:1], vcc, s[0:1]
                                        ; implicit-def: $vgpr14
	s_and_saveexec_b64 s[28:29], s[0:1]
	s_xor_b64 s[0:1], exec, s[28:29]
; %bb.69:                               ;   in Loop: Header=BB10_29 Depth=1
	v_min_i32_e32 v14, 15, v18
	v_lshl_or_b32 v10, v14, 3, v10
	v_and_or_b32 v14, v22, 7, v10
                                        ; implicit-def: $vgpr10
; %bb.70:                               ;   in Loop: Header=BB10_29 Depth=1
	s_andn2_saveexec_b64 s[0:1], s[0:1]
; %bb.71:                               ;   in Loop: Header=BB10_29 Depth=1
	v_mov_b32_e32 v14, v10
; %bb.72:                               ;   in Loop: Header=BB10_29 Depth=1
	s_or_b64 exec, exec, s[0:1]
.LBB10_73:                              ;   in Loop: Header=BB10_29 Depth=1
	s_or_b64 exec, exec, s[16:17]
.LBB10_74:                              ;   in Loop: Header=BB10_29 Depth=1
	s_andn2_saveexec_b64 s[0:1], s[14:15]
	s_or_b64 exec, exec, s[0:1]
                                        ; implicit-def: $vgpr22
.LBB10_75:                              ;   in Loop: Header=BB10_29 Depth=1
	s_andn2_saveexec_b64 s[0:1], s[12:13]
; %bb.76:                               ;   in Loop: Header=BB10_29 Depth=1
	v_or_b32_sdwa v10, v22, s26 dst_sel:DWORD dst_unused:UNUSED_PAD src0_sel:BYTE_3 src1_sel:DWORD
	v_cmp_eq_u64_e32 vcc, 0, v[18:19]
	v_cndmask_b32_e32 v14, v10, v14, vcc
; %bb.77:                               ;   in Loop: Header=BB10_29 Depth=1
	s_or_b64 exec, exec, s[0:1]
	v_fma_mixlo_f16 v10, v1, v11, 0 op_sel:[0,1,0] op_sel_hi:[0,1,0]
	v_mul_f16_sdwa v10, v15, v10 dst_sel:DWORD dst_unused:UNUSED_PAD src0_sel:WORD_1 src1_sel:DWORD
	v_cvt_f32_f16_e32 v10, v10
	v_add_u32_e32 v11, 2, v21
	global_store_byte v11, v14, s[2:3]
	v_mov_b32_e32 v23, v19
	v_mul_f32_e32 v10, v24, v10
	v_min_f32_e32 v10, 0x43e00000, v10
	v_max_f32_e32 v10, 0xc3e00000, v10
	v_and_b32_sdwa v14, v10, s24 dst_sel:DWORD dst_unused:UNUSED_PAD src0_sel:BYTE_3 src1_sel:DWORD
	v_and_b32_e32 v22, 0x7f800000, v10
	v_and_b32_e32 v18, 0x7fffff, v10
	v_or_b32_e32 v11, 0x7e, v14
	v_cmp_ne_u64_e32 vcc, s[6:7], v[22:23]
	s_and_saveexec_b64 s[0:1], vcc
	s_xor_b64 s[12:13], exec, s[0:1]
	s_cbranch_execz .LBB10_91
; %bb.78:                               ;   in Loop: Header=BB10_29 Depth=1
	v_and_b32_e32 v22, 0x7fffffff, v10
	v_mov_b32_e32 v23, v19
	v_cmp_gt_u64_e32 vcc, s[10:11], v[22:23]
	s_and_saveexec_b64 s[0:1], vcc
	s_xor_b64 s[14:15], exec, s[0:1]
	s_cbranch_execz .LBB10_90
; %bb.79:                               ;   in Loop: Header=BB10_29 Depth=1
	v_cmp_ne_u32_e32 vcc, 0, v10
	v_mov_b32_e32 v11, 0
	s_and_saveexec_b64 s[16:17], vcc
	s_cbranch_execz .LBB10_89
; %bb.80:                               ;   in Loop: Header=BB10_29 Depth=1
	v_bfe_u32 v10, v10, 23, 8
	v_sub_u32_e64 v11, s25, v10 clamp
	v_cmp_eq_u32_e32 vcc, 0, v10
	v_cndmask_b32_e32 v28, v11, v25, vcc
	v_add_u32_e32 v27, 0xffffff88, v10
	v_add_u32_e32 v10, 20, v28
	v_or_b32_e32 v15, 0x800000, v18
	v_lshlrev_b64 v[10:11], v10, -1
	v_cndmask_b32_e32 v18, v15, v18, vcc
	v_not_b32_e32 v11, v11
	v_not_b32_e32 v10, v10
	v_add_u32_e32 v15, 19, v28
	v_and_b32_e32 v11, 0, v11
	v_and_b32_e32 v10, v18, v10
	v_lshlrev_b64 v[22:23], v15, 1
	v_cmp_eq_u64_e64 s[0:1], v[10:11], v[22:23]
	v_lshrrev_b64 v[10:11], v28, v[18:19]
	v_cndmask_b32_e32 v15, v27, v26, vcc
	v_lshrrev_b32_e32 v18, 23, v10
	v_add3_u32 v22, v15, v28, v18
	v_and_b32_e32 v18, 0x100000, v10
	v_cmp_eq_u64_e32 vcc, 0, v[18:19]
	s_and_b64 vcc, vcc, s[0:1]
	v_subbrev_co_u32_e32 v15, vcc, 0, v10, vcc
	v_and_b32_e32 v15, 0xfffff, v15
	v_add_co_u32_e32 v10, vcc, v15, v10
	v_add_u32_e32 v23, -1, v22
	v_addc_co_u32_e32 v11, vcc, 0, v11, vcc
	v_cmp_ne_u32_e32 vcc, 0, v23
                                        ; implicit-def: $vgpr15
	s_and_saveexec_b64 s[0:1], vcc
	s_xor_b64 s[0:1], exec, s[0:1]
; %bb.81:                               ;   in Loop: Header=BB10_29 Depth=1
	v_and_b32_e32 v18, 0x1000000, v10
	v_cmp_eq_u64_e32 vcc, 0, v[18:19]
	v_bfe_u32 v18, v10, 24, 1
	v_cndmask_b32_e32 v15, v22, v23, vcc
	v_lshrrev_b64 v[10:11], v18, v[10:11]
; %bb.82:                               ;   in Loop: Header=BB10_29 Depth=1
	s_andn2_saveexec_b64 s[0:1], s[0:1]
; %bb.83:                               ;   in Loop: Header=BB10_29 Depth=1
	v_bfe_u32 v15, v10, 23, 1
; %bb.84:                               ;   in Loop: Header=BB10_29 Depth=1
	s_or_b64 exec, exec, s[0:1]
	v_lshrrev_b64 v[10:11], 20, v[10:11]
	v_cmp_gt_i32_e32 vcc, 16, v15
	v_cndmask_b32_e32 v11, 0, v11, vcc
	v_cndmask_b32_e32 v10, 7, v10, vcc
	v_cmp_ne_u32_e32 vcc, 0, v15
	v_cmp_ne_u64_e64 s[0:1], 0, v[10:11]
	s_or_b64 s[0:1], vcc, s[0:1]
                                        ; implicit-def: $vgpr11
	s_and_saveexec_b64 s[28:29], s[0:1]
	s_xor_b64 s[0:1], exec, s[28:29]
; %bb.85:                               ;   in Loop: Header=BB10_29 Depth=1
	v_min_i32_e32 v11, 15, v15
	v_lshl_or_b32 v11, v11, 3, v14
	v_and_or_b32 v11, v10, 7, v11
                                        ; implicit-def: $vgpr14
; %bb.86:                               ;   in Loop: Header=BB10_29 Depth=1
	s_andn2_saveexec_b64 s[0:1], s[0:1]
; %bb.87:                               ;   in Loop: Header=BB10_29 Depth=1
	v_mov_b32_e32 v11, v14
; %bb.88:                               ;   in Loop: Header=BB10_29 Depth=1
	s_or_b64 exec, exec, s[0:1]
.LBB10_89:                              ;   in Loop: Header=BB10_29 Depth=1
	s_or_b64 exec, exec, s[16:17]
.LBB10_90:                              ;   in Loop: Header=BB10_29 Depth=1
	s_andn2_saveexec_b64 s[0:1], s[14:15]
	s_or_b64 exec, exec, s[0:1]
                                        ; implicit-def: $vgpr10
.LBB10_91:                              ;   in Loop: Header=BB10_29 Depth=1
	s_andn2_saveexec_b64 s[0:1], s[12:13]
; %bb.92:                               ;   in Loop: Header=BB10_29 Depth=1
	v_or_b32_sdwa v10, v10, s26 dst_sel:DWORD dst_unused:UNUSED_PAD src0_sel:BYTE_3 src1_sel:DWORD
	v_cmp_eq_u64_e32 vcc, 0, v[18:19]
	v_cndmask_b32_e32 v11, v10, v11, vcc
; %bb.93:                               ;   in Loop: Header=BB10_29 Depth=1
	s_or_b64 exec, exec, s[0:1]
	v_fma_mixlo_f16 v10, v1, v12, 0 op_sel_hi:[0,1,0]
	v_mul_f16_e32 v10, v16, v10
	v_cvt_f32_f16_e32 v10, v10
	v_add_u32_e32 v14, 3, v21
	global_store_byte v14, v11, s[2:3]
	v_mov_b32_e32 v23, v19
	v_mul_f32_e32 v10, v24, v10
	v_min_f32_e32 v10, 0x43e00000, v10
	v_max_f32_e32 v10, 0xc3e00000, v10
	v_and_b32_sdwa v14, v10, s24 dst_sel:DWORD dst_unused:UNUSED_PAD src0_sel:BYTE_3 src1_sel:DWORD
	v_and_b32_e32 v22, 0x7f800000, v10
	v_and_b32_e32 v18, 0x7fffff, v10
	v_or_b32_e32 v11, 0x7e, v14
	v_cmp_ne_u64_e32 vcc, s[6:7], v[22:23]
	s_and_saveexec_b64 s[0:1], vcc
	s_xor_b64 s[12:13], exec, s[0:1]
	s_cbranch_execz .LBB10_107
; %bb.94:                               ;   in Loop: Header=BB10_29 Depth=1
	v_and_b32_e32 v22, 0x7fffffff, v10
	v_mov_b32_e32 v23, v19
	v_cmp_gt_u64_e32 vcc, s[10:11], v[22:23]
	s_and_saveexec_b64 s[0:1], vcc
	s_xor_b64 s[14:15], exec, s[0:1]
	s_cbranch_execz .LBB10_106
; %bb.95:                               ;   in Loop: Header=BB10_29 Depth=1
	v_cmp_ne_u32_e32 vcc, 0, v10
	v_mov_b32_e32 v11, 0
	s_and_saveexec_b64 s[16:17], vcc
	s_cbranch_execz .LBB10_105
; %bb.96:                               ;   in Loop: Header=BB10_29 Depth=1
	v_bfe_u32 v10, v10, 23, 8
	v_sub_u32_e64 v11, s25, v10 clamp
	v_cmp_eq_u32_e32 vcc, 0, v10
	v_cndmask_b32_e32 v28, v11, v25, vcc
	v_add_u32_e32 v27, 0xffffff88, v10
	v_add_u32_e32 v10, 20, v28
	v_or_b32_e32 v15, 0x800000, v18
	v_lshlrev_b64 v[10:11], v10, -1
	v_cndmask_b32_e32 v18, v15, v18, vcc
	v_not_b32_e32 v11, v11
	v_not_b32_e32 v10, v10
	v_add_u32_e32 v15, 19, v28
	v_and_b32_e32 v11, 0, v11
	v_and_b32_e32 v10, v18, v10
	v_lshlrev_b64 v[22:23], v15, 1
	v_cmp_eq_u64_e64 s[0:1], v[10:11], v[22:23]
	v_lshrrev_b64 v[10:11], v28, v[18:19]
	v_cndmask_b32_e32 v15, v27, v26, vcc
	v_lshrrev_b32_e32 v18, 23, v10
	v_add3_u32 v22, v15, v28, v18
	v_and_b32_e32 v18, 0x100000, v10
	v_cmp_eq_u64_e32 vcc, 0, v[18:19]
	s_and_b64 vcc, vcc, s[0:1]
	v_subbrev_co_u32_e32 v15, vcc, 0, v10, vcc
	v_and_b32_e32 v15, 0xfffff, v15
	v_add_co_u32_e32 v10, vcc, v15, v10
	v_add_u32_e32 v23, -1, v22
	v_addc_co_u32_e32 v11, vcc, 0, v11, vcc
	v_cmp_ne_u32_e32 vcc, 0, v23
                                        ; implicit-def: $vgpr15
	s_and_saveexec_b64 s[0:1], vcc
	s_xor_b64 s[0:1], exec, s[0:1]
; %bb.97:                               ;   in Loop: Header=BB10_29 Depth=1
	v_and_b32_e32 v18, 0x1000000, v10
	v_cmp_eq_u64_e32 vcc, 0, v[18:19]
	v_bfe_u32 v18, v10, 24, 1
	v_cndmask_b32_e32 v15, v22, v23, vcc
	v_lshrrev_b64 v[10:11], v18, v[10:11]
; %bb.98:                               ;   in Loop: Header=BB10_29 Depth=1
	s_andn2_saveexec_b64 s[0:1], s[0:1]
; %bb.99:                               ;   in Loop: Header=BB10_29 Depth=1
	v_bfe_u32 v15, v10, 23, 1
; %bb.100:                              ;   in Loop: Header=BB10_29 Depth=1
	s_or_b64 exec, exec, s[0:1]
	v_lshrrev_b64 v[10:11], 20, v[10:11]
	v_cmp_gt_i32_e32 vcc, 16, v15
	v_cndmask_b32_e32 v11, 0, v11, vcc
	v_cndmask_b32_e32 v10, 7, v10, vcc
	v_cmp_ne_u32_e32 vcc, 0, v15
	v_cmp_ne_u64_e64 s[0:1], 0, v[10:11]
	s_or_b64 s[0:1], vcc, s[0:1]
                                        ; implicit-def: $vgpr11
	s_and_saveexec_b64 s[28:29], s[0:1]
	s_xor_b64 s[0:1], exec, s[28:29]
; %bb.101:                              ;   in Loop: Header=BB10_29 Depth=1
	v_min_i32_e32 v11, 15, v15
	v_lshl_or_b32 v11, v11, 3, v14
	v_and_or_b32 v11, v10, 7, v11
                                        ; implicit-def: $vgpr14
; %bb.102:                              ;   in Loop: Header=BB10_29 Depth=1
	s_andn2_saveexec_b64 s[0:1], s[0:1]
; %bb.103:                              ;   in Loop: Header=BB10_29 Depth=1
	v_mov_b32_e32 v11, v14
; %bb.104:                              ;   in Loop: Header=BB10_29 Depth=1
	s_or_b64 exec, exec, s[0:1]
.LBB10_105:                             ;   in Loop: Header=BB10_29 Depth=1
	s_or_b64 exec, exec, s[16:17]
.LBB10_106:                             ;   in Loop: Header=BB10_29 Depth=1
	s_andn2_saveexec_b64 s[0:1], s[14:15]
	s_or_b64 exec, exec, s[0:1]
                                        ; implicit-def: $vgpr10
.LBB10_107:                             ;   in Loop: Header=BB10_29 Depth=1
	s_andn2_saveexec_b64 s[0:1], s[12:13]
; %bb.108:                              ;   in Loop: Header=BB10_29 Depth=1
	v_or_b32_sdwa v10, v10, s26 dst_sel:DWORD dst_unused:UNUSED_PAD src0_sel:BYTE_3 src1_sel:DWORD
	v_cmp_eq_u64_e32 vcc, 0, v[18:19]
	v_cndmask_b32_e32 v11, v10, v11, vcc
; %bb.109:                              ;   in Loop: Header=BB10_29 Depth=1
	s_or_b64 exec, exec, s[0:1]
	v_fma_mixlo_f16 v10, v1, v12, 0 op_sel:[0,1,0] op_sel_hi:[0,1,0]
	v_mul_f16_sdwa v10, v16, v10 dst_sel:DWORD dst_unused:UNUSED_PAD src0_sel:WORD_1 src1_sel:DWORD
	v_cvt_f32_f16_e32 v10, v10
	v_add_u32_e32 v12, 4, v21
	global_store_byte v12, v11, s[2:3]
	v_mov_b32_e32 v15, v19
	v_mul_f32_e32 v10, v24, v10
	v_min_f32_e32 v10, 0x43e00000, v10
	v_max_f32_e32 v10, 0xc3e00000, v10
	v_and_b32_sdwa v12, v10, s24 dst_sel:DWORD dst_unused:UNUSED_PAD src0_sel:BYTE_3 src1_sel:DWORD
	v_and_b32_e32 v14, 0x7f800000, v10
	v_and_b32_e32 v18, 0x7fffff, v10
	v_or_b32_e32 v11, 0x7e, v12
	v_cmp_ne_u64_e32 vcc, s[6:7], v[14:15]
	s_and_saveexec_b64 s[0:1], vcc
	s_xor_b64 s[12:13], exec, s[0:1]
	s_cbranch_execz .LBB10_123
; %bb.110:                              ;   in Loop: Header=BB10_29 Depth=1
	v_and_b32_e32 v14, 0x7fffffff, v10
	v_mov_b32_e32 v15, v19
	v_cmp_gt_u64_e32 vcc, s[10:11], v[14:15]
	s_and_saveexec_b64 s[0:1], vcc
	s_xor_b64 s[14:15], exec, s[0:1]
	s_cbranch_execz .LBB10_122
; %bb.111:                              ;   in Loop: Header=BB10_29 Depth=1
	v_cmp_ne_u32_e32 vcc, 0, v10
	v_mov_b32_e32 v11, 0
	s_and_saveexec_b64 s[16:17], vcc
	s_cbranch_execz .LBB10_121
; %bb.112:                              ;   in Loop: Header=BB10_29 Depth=1
	v_bfe_u32 v10, v10, 23, 8
	v_sub_u32_e64 v11, s25, v10 clamp
	v_cmp_eq_u32_e32 vcc, 0, v10
	v_cndmask_b32_e32 v22, v11, v25, vcc
	v_add_u32_e32 v16, 0xffffff88, v10
	v_add_u32_e32 v10, 20, v22
	v_or_b32_e32 v14, 0x800000, v18
	v_lshlrev_b64 v[10:11], v10, -1
	v_cndmask_b32_e32 v18, v14, v18, vcc
	v_not_b32_e32 v11, v11
	v_not_b32_e32 v10, v10
	v_add_u32_e32 v14, 19, v22
	v_and_b32_e32 v11, 0, v11
	v_and_b32_e32 v10, v18, v10
	v_lshlrev_b64 v[14:15], v14, 1
	v_cmp_eq_u64_e64 s[0:1], v[10:11], v[14:15]
	v_lshrrev_b64 v[10:11], v22, v[18:19]
	v_and_b32_e32 v18, 0x100000, v10
	v_cndmask_b32_e32 v14, v16, v26, vcc
	v_cmp_eq_u64_e32 vcc, 0, v[18:19]
	v_lshrrev_b32_e32 v15, 23, v10
	s_and_b64 vcc, vcc, s[0:1]
	v_add3_u32 v15, v14, v22, v15
	v_subbrev_co_u32_e32 v14, vcc, 0, v10, vcc
	v_and_b32_e32 v14, 0xfffff, v14
	v_add_co_u32_e32 v10, vcc, v14, v10
	v_add_u32_e32 v16, -1, v15
	v_addc_co_u32_e32 v11, vcc, 0, v11, vcc
	v_cmp_ne_u32_e32 vcc, 0, v16
                                        ; implicit-def: $vgpr14
	s_and_saveexec_b64 s[0:1], vcc
	s_xor_b64 s[0:1], exec, s[0:1]
; %bb.113:                              ;   in Loop: Header=BB10_29 Depth=1
	v_and_b32_e32 v18, 0x1000000, v10
	v_cmp_eq_u64_e32 vcc, 0, v[18:19]
	v_cndmask_b32_e32 v14, v15, v16, vcc
	v_bfe_u32 v15, v10, 24, 1
	v_lshrrev_b64 v[10:11], v15, v[10:11]
; %bb.114:                              ;   in Loop: Header=BB10_29 Depth=1
	s_andn2_saveexec_b64 s[0:1], s[0:1]
; %bb.115:                              ;   in Loop: Header=BB10_29 Depth=1
	v_bfe_u32 v14, v10, 23, 1
; %bb.116:                              ;   in Loop: Header=BB10_29 Depth=1
	s_or_b64 exec, exec, s[0:1]
	v_lshrrev_b64 v[10:11], 20, v[10:11]
	v_cmp_gt_i32_e32 vcc, 16, v14
	v_cndmask_b32_e32 v11, 0, v11, vcc
	v_cndmask_b32_e32 v10, 7, v10, vcc
	v_cmp_ne_u32_e32 vcc, 0, v14
	v_cmp_ne_u64_e64 s[0:1], 0, v[10:11]
	s_or_b64 s[0:1], vcc, s[0:1]
                                        ; implicit-def: $vgpr11
	s_and_saveexec_b64 s[28:29], s[0:1]
	s_xor_b64 s[0:1], exec, s[28:29]
; %bb.117:                              ;   in Loop: Header=BB10_29 Depth=1
	v_min_i32_e32 v11, 15, v14
	v_lshl_or_b32 v11, v11, 3, v12
	v_and_or_b32 v11, v10, 7, v11
                                        ; implicit-def: $vgpr12
; %bb.118:                              ;   in Loop: Header=BB10_29 Depth=1
	s_andn2_saveexec_b64 s[0:1], s[0:1]
; %bb.119:                              ;   in Loop: Header=BB10_29 Depth=1
	v_mov_b32_e32 v11, v12
; %bb.120:                              ;   in Loop: Header=BB10_29 Depth=1
	s_or_b64 exec, exec, s[0:1]
.LBB10_121:                             ;   in Loop: Header=BB10_29 Depth=1
	s_or_b64 exec, exec, s[16:17]
.LBB10_122:                             ;   in Loop: Header=BB10_29 Depth=1
	s_andn2_saveexec_b64 s[0:1], s[14:15]
	s_or_b64 exec, exec, s[0:1]
                                        ; implicit-def: $vgpr10
.LBB10_123:                             ;   in Loop: Header=BB10_29 Depth=1
	s_andn2_saveexec_b64 s[0:1], s[12:13]
; %bb.124:                              ;   in Loop: Header=BB10_29 Depth=1
	v_or_b32_sdwa v10, v10, s26 dst_sel:DWORD dst_unused:UNUSED_PAD src0_sel:BYTE_3 src1_sel:DWORD
	v_cmp_eq_u64_e32 vcc, 0, v[18:19]
	v_cndmask_b32_e32 v11, v10, v11, vcc
; %bb.125:                              ;   in Loop: Header=BB10_29 Depth=1
	s_or_b64 exec, exec, s[0:1]
	v_fma_mixlo_f16 v10, v1, v13, 0 op_sel_hi:[0,1,0]
	v_mul_f16_e32 v10, v17, v10
	v_cvt_f32_f16_e32 v10, v10
	v_add_u32_e32 v12, 5, v21
	global_store_byte v12, v11, s[2:3]
	v_mov_b32_e32 v15, v19
	v_mul_f32_e32 v10, v24, v10
	v_min_f32_e32 v10, 0x43e00000, v10
	v_max_f32_e32 v10, 0xc3e00000, v10
	v_and_b32_sdwa v12, v10, s24 dst_sel:DWORD dst_unused:UNUSED_PAD src0_sel:BYTE_3 src1_sel:DWORD
	v_and_b32_e32 v14, 0x7f800000, v10
	v_and_b32_e32 v18, 0x7fffff, v10
	v_or_b32_e32 v11, 0x7e, v12
	v_cmp_ne_u64_e32 vcc, s[6:7], v[14:15]
	s_and_saveexec_b64 s[0:1], vcc
	s_xor_b64 s[12:13], exec, s[0:1]
	s_cbranch_execz .LBB10_139
; %bb.126:                              ;   in Loop: Header=BB10_29 Depth=1
	v_and_b32_e32 v14, 0x7fffffff, v10
	v_mov_b32_e32 v15, v19
	v_cmp_gt_u64_e32 vcc, s[10:11], v[14:15]
	s_and_saveexec_b64 s[0:1], vcc
	s_xor_b64 s[14:15], exec, s[0:1]
	s_cbranch_execz .LBB10_138
; %bb.127:                              ;   in Loop: Header=BB10_29 Depth=1
	v_cmp_ne_u32_e32 vcc, 0, v10
	v_mov_b32_e32 v11, 0
	s_and_saveexec_b64 s[16:17], vcc
	s_cbranch_execz .LBB10_137
; %bb.128:                              ;   in Loop: Header=BB10_29 Depth=1
	v_bfe_u32 v10, v10, 23, 8
	v_sub_u32_e64 v11, s25, v10 clamp
	v_cmp_eq_u32_e32 vcc, 0, v10
	v_cndmask_b32_e32 v22, v11, v25, vcc
	v_add_u32_e32 v16, 0xffffff88, v10
	v_add_u32_e32 v10, 20, v22
	v_or_b32_e32 v14, 0x800000, v18
	v_lshlrev_b64 v[10:11], v10, -1
	v_cndmask_b32_e32 v18, v14, v18, vcc
	v_not_b32_e32 v11, v11
	v_not_b32_e32 v10, v10
	v_add_u32_e32 v14, 19, v22
	v_and_b32_e32 v11, 0, v11
	v_and_b32_e32 v10, v18, v10
	v_lshlrev_b64 v[14:15], v14, 1
	v_cmp_eq_u64_e64 s[0:1], v[10:11], v[14:15]
	v_lshrrev_b64 v[10:11], v22, v[18:19]
	v_and_b32_e32 v18, 0x100000, v10
	v_cndmask_b32_e32 v14, v16, v26, vcc
	v_cmp_eq_u64_e32 vcc, 0, v[18:19]
	v_lshrrev_b32_e32 v15, 23, v10
	s_and_b64 vcc, vcc, s[0:1]
	v_add3_u32 v15, v14, v22, v15
	v_subbrev_co_u32_e32 v14, vcc, 0, v10, vcc
	v_and_b32_e32 v14, 0xfffff, v14
	v_add_co_u32_e32 v10, vcc, v14, v10
	v_add_u32_e32 v16, -1, v15
	v_addc_co_u32_e32 v11, vcc, 0, v11, vcc
	v_cmp_ne_u32_e32 vcc, 0, v16
                                        ; implicit-def: $vgpr14
	s_and_saveexec_b64 s[0:1], vcc
	s_xor_b64 s[0:1], exec, s[0:1]
; %bb.129:                              ;   in Loop: Header=BB10_29 Depth=1
	v_and_b32_e32 v18, 0x1000000, v10
	v_cmp_eq_u64_e32 vcc, 0, v[18:19]
	v_cndmask_b32_e32 v14, v15, v16, vcc
	v_bfe_u32 v15, v10, 24, 1
	v_lshrrev_b64 v[10:11], v15, v[10:11]
; %bb.130:                              ;   in Loop: Header=BB10_29 Depth=1
	s_andn2_saveexec_b64 s[0:1], s[0:1]
; %bb.131:                              ;   in Loop: Header=BB10_29 Depth=1
	v_bfe_u32 v14, v10, 23, 1
; %bb.132:                              ;   in Loop: Header=BB10_29 Depth=1
	s_or_b64 exec, exec, s[0:1]
	v_lshrrev_b64 v[10:11], 20, v[10:11]
	v_cmp_gt_i32_e32 vcc, 16, v14
	v_cndmask_b32_e32 v11, 0, v11, vcc
	v_cndmask_b32_e32 v10, 7, v10, vcc
	v_cmp_ne_u32_e32 vcc, 0, v14
	v_cmp_ne_u64_e64 s[0:1], 0, v[10:11]
	s_or_b64 s[0:1], vcc, s[0:1]
                                        ; implicit-def: $vgpr11
	s_and_saveexec_b64 s[28:29], s[0:1]
	s_xor_b64 s[0:1], exec, s[28:29]
; %bb.133:                              ;   in Loop: Header=BB10_29 Depth=1
	v_min_i32_e32 v11, 15, v14
	v_lshl_or_b32 v11, v11, 3, v12
	v_and_or_b32 v11, v10, 7, v11
                                        ; implicit-def: $vgpr12
; %bb.134:                              ;   in Loop: Header=BB10_29 Depth=1
	s_andn2_saveexec_b64 s[0:1], s[0:1]
; %bb.135:                              ;   in Loop: Header=BB10_29 Depth=1
	v_mov_b32_e32 v11, v12
; %bb.136:                              ;   in Loop: Header=BB10_29 Depth=1
	s_or_b64 exec, exec, s[0:1]
.LBB10_137:                             ;   in Loop: Header=BB10_29 Depth=1
	s_or_b64 exec, exec, s[16:17]
.LBB10_138:                             ;   in Loop: Header=BB10_29 Depth=1
	s_andn2_saveexec_b64 s[0:1], s[14:15]
	s_or_b64 exec, exec, s[0:1]
                                        ; implicit-def: $vgpr10
.LBB10_139:                             ;   in Loop: Header=BB10_29 Depth=1
	s_andn2_saveexec_b64 s[0:1], s[12:13]
; %bb.140:                              ;   in Loop: Header=BB10_29 Depth=1
	v_or_b32_sdwa v10, v10, s26 dst_sel:DWORD dst_unused:UNUSED_PAD src0_sel:BYTE_3 src1_sel:DWORD
	v_cmp_eq_u64_e32 vcc, 0, v[18:19]
	v_cndmask_b32_e32 v11, v10, v11, vcc
; %bb.141:                              ;   in Loop: Header=BB10_29 Depth=1
	s_or_b64 exec, exec, s[0:1]
	v_fma_mixlo_f16 v10, v1, v13, 0 op_sel:[0,1,0] op_sel_hi:[0,1,0]
	v_mul_f16_sdwa v10, v17, v10 dst_sel:DWORD dst_unused:UNUSED_PAD src0_sel:WORD_1 src1_sel:DWORD
	v_cvt_f32_f16_e32 v10, v10
	v_add_u32_e32 v12, 6, v21
	global_store_byte v12, v11, s[2:3]
	v_mov_b32_e32 v15, v19
	v_mul_f32_e32 v10, v24, v10
	v_min_f32_e32 v10, 0x43e00000, v10
	v_max_f32_e32 v10, 0xc3e00000, v10
	v_and_b32_sdwa v12, v10, s24 dst_sel:DWORD dst_unused:UNUSED_PAD src0_sel:BYTE_3 src1_sel:DWORD
	v_and_b32_e32 v14, 0x7f800000, v10
	v_and_b32_e32 v18, 0x7fffff, v10
	v_or_b32_e32 v11, 0x7e, v12
	v_cmp_ne_u64_e32 vcc, s[6:7], v[14:15]
	s_and_saveexec_b64 s[0:1], vcc
	s_xor_b64 s[12:13], exec, s[0:1]
	s_cbranch_execz .LBB10_155
; %bb.142:                              ;   in Loop: Header=BB10_29 Depth=1
	v_and_b32_e32 v14, 0x7fffffff, v10
	v_mov_b32_e32 v15, v19
	v_cmp_gt_u64_e32 vcc, s[10:11], v[14:15]
	s_and_saveexec_b64 s[0:1], vcc
	s_xor_b64 s[14:15], exec, s[0:1]
	s_cbranch_execz .LBB10_154
; %bb.143:                              ;   in Loop: Header=BB10_29 Depth=1
	v_cmp_ne_u32_e32 vcc, 0, v10
	v_mov_b32_e32 v11, 0
	s_and_saveexec_b64 s[16:17], vcc
	s_cbranch_execz .LBB10_153
; %bb.144:                              ;   in Loop: Header=BB10_29 Depth=1
	v_bfe_u32 v10, v10, 23, 8
	v_sub_u32_e64 v11, s25, v10 clamp
	v_cmp_eq_u32_e32 vcc, 0, v10
	v_cndmask_b32_e32 v17, v11, v25, vcc
	v_add_u32_e32 v16, 0xffffff88, v10
	v_add_u32_e32 v10, 20, v17
	v_or_b32_e32 v13, 0x800000, v18
	v_lshlrev_b64 v[10:11], v10, -1
	v_cndmask_b32_e32 v18, v13, v18, vcc
	v_not_b32_e32 v11, v11
	v_not_b32_e32 v10, v10
	v_add_u32_e32 v13, 19, v17
	v_and_b32_e32 v11, 0, v11
	v_and_b32_e32 v10, v18, v10
	v_lshlrev_b64 v[14:15], v13, 1
	v_cmp_eq_u64_e64 s[0:1], v[10:11], v[14:15]
	v_lshrrev_b64 v[10:11], v17, v[18:19]
	v_and_b32_e32 v18, 0x100000, v10
	v_cndmask_b32_e32 v13, v16, v26, vcc
	v_cmp_eq_u64_e32 vcc, 0, v[18:19]
	v_lshrrev_b32_e32 v14, 23, v10
	s_and_b64 vcc, vcc, s[0:1]
	v_add3_u32 v14, v13, v17, v14
	v_subbrev_co_u32_e32 v13, vcc, 0, v10, vcc
	v_and_b32_e32 v13, 0xfffff, v13
	v_add_co_u32_e32 v10, vcc, v13, v10
	v_add_u32_e32 v15, -1, v14
	v_addc_co_u32_e32 v11, vcc, 0, v11, vcc
	v_cmp_ne_u32_e32 vcc, 0, v15
                                        ; implicit-def: $vgpr13
	s_and_saveexec_b64 s[0:1], vcc
	s_xor_b64 s[0:1], exec, s[0:1]
; %bb.145:                              ;   in Loop: Header=BB10_29 Depth=1
	v_and_b32_e32 v18, 0x1000000, v10
	v_cmp_eq_u64_e32 vcc, 0, v[18:19]
	v_cndmask_b32_e32 v13, v14, v15, vcc
	v_bfe_u32 v14, v10, 24, 1
	v_lshrrev_b64 v[10:11], v14, v[10:11]
; %bb.146:                              ;   in Loop: Header=BB10_29 Depth=1
	s_andn2_saveexec_b64 s[0:1], s[0:1]
; %bb.147:                              ;   in Loop: Header=BB10_29 Depth=1
	v_bfe_u32 v13, v10, 23, 1
; %bb.148:                              ;   in Loop: Header=BB10_29 Depth=1
	s_or_b64 exec, exec, s[0:1]
	v_lshrrev_b64 v[10:11], 20, v[10:11]
	v_cmp_gt_i32_e32 vcc, 16, v13
	v_cndmask_b32_e32 v11, 0, v11, vcc
	v_cndmask_b32_e32 v10, 7, v10, vcc
	v_cmp_ne_u32_e32 vcc, 0, v13
	v_cmp_ne_u64_e64 s[0:1], 0, v[10:11]
	s_or_b64 s[0:1], vcc, s[0:1]
                                        ; implicit-def: $vgpr11
	s_and_saveexec_b64 s[28:29], s[0:1]
	s_xor_b64 s[0:1], exec, s[28:29]
; %bb.149:                              ;   in Loop: Header=BB10_29 Depth=1
	v_min_i32_e32 v11, 15, v13
	v_lshl_or_b32 v11, v11, 3, v12
	v_and_or_b32 v11, v10, 7, v11
                                        ; implicit-def: $vgpr12
; %bb.150:                              ;   in Loop: Header=BB10_29 Depth=1
	s_andn2_saveexec_b64 s[0:1], s[0:1]
; %bb.151:                              ;   in Loop: Header=BB10_29 Depth=1
	v_mov_b32_e32 v11, v12
; %bb.152:                              ;   in Loop: Header=BB10_29 Depth=1
	s_or_b64 exec, exec, s[0:1]
.LBB10_153:                             ;   in Loop: Header=BB10_29 Depth=1
	s_or_b64 exec, exec, s[16:17]
.LBB10_154:                             ;   in Loop: Header=BB10_29 Depth=1
	s_andn2_saveexec_b64 s[0:1], s[14:15]
	s_or_b64 exec, exec, s[0:1]
                                        ; implicit-def: $vgpr10
.LBB10_155:                             ;   in Loop: Header=BB10_29 Depth=1
	s_andn2_saveexec_b64 s[0:1], s[12:13]
; %bb.156:                              ;   in Loop: Header=BB10_29 Depth=1
	v_or_b32_sdwa v10, v10, s26 dst_sel:DWORD dst_unused:UNUSED_PAD src0_sel:BYTE_3 src1_sel:DWORD
	v_cmp_eq_u64_e32 vcc, 0, v[18:19]
	v_cndmask_b32_e32 v11, v10, v11, vcc
; %bb.157:                              ;   in Loop: Header=BB10_29 Depth=1
	s_or_b64 exec, exec, s[0:1]
	s_waitcnt vmcnt(8)
	v_fma_mixlo_f16 v10, v1, v2, 0 op_sel_hi:[0,1,0]
	s_waitcnt vmcnt(7)
	v_mul_f16_e32 v10, v6, v10
	v_cvt_f32_f16_e32 v10, v10
	v_add_u32_e32 v12, 7, v21
	global_store_byte v12, v11, s[2:3]
	v_mov_b32_e32 v15, v19
	v_mul_f32_e32 v10, v24, v10
	v_min_f32_e32 v10, 0x43e00000, v10
	v_max_f32_e32 v10, 0xc3e00000, v10
	v_and_b32_sdwa v12, v10, s24 dst_sel:DWORD dst_unused:UNUSED_PAD src0_sel:BYTE_3 src1_sel:DWORD
	v_and_b32_e32 v14, 0x7f800000, v10
	v_and_b32_e32 v18, 0x7fffff, v10
	v_or_b32_e32 v11, 0x7e, v12
	v_cmp_ne_u64_e32 vcc, s[6:7], v[14:15]
	s_and_saveexec_b64 s[0:1], vcc
	s_xor_b64 s[12:13], exec, s[0:1]
	s_cbranch_execz .LBB10_171
; %bb.158:                              ;   in Loop: Header=BB10_29 Depth=1
	v_and_b32_e32 v14, 0x7fffffff, v10
	v_mov_b32_e32 v15, v19
	v_cmp_gt_u64_e32 vcc, s[10:11], v[14:15]
	s_and_saveexec_b64 s[0:1], vcc
	s_xor_b64 s[14:15], exec, s[0:1]
	s_cbranch_execz .LBB10_170
; %bb.159:                              ;   in Loop: Header=BB10_29 Depth=1
	v_cmp_ne_u32_e32 vcc, 0, v10
	v_mov_b32_e32 v11, 0
	s_and_saveexec_b64 s[16:17], vcc
	s_cbranch_execz .LBB10_169
; %bb.160:                              ;   in Loop: Header=BB10_29 Depth=1
	v_bfe_u32 v10, v10, 23, 8
	v_sub_u32_e64 v11, s25, v10 clamp
	v_cmp_eq_u32_e32 vcc, 0, v10
	v_cndmask_b32_e32 v17, v11, v25, vcc
	v_add_u32_e32 v16, 0xffffff88, v10
	v_add_u32_e32 v10, 20, v17
	v_or_b32_e32 v13, 0x800000, v18
	v_lshlrev_b64 v[10:11], v10, -1
	v_cndmask_b32_e32 v18, v13, v18, vcc
	v_not_b32_e32 v11, v11
	v_not_b32_e32 v10, v10
	v_add_u32_e32 v13, 19, v17
	v_and_b32_e32 v11, 0, v11
	v_and_b32_e32 v10, v18, v10
	v_lshlrev_b64 v[14:15], v13, 1
	v_cmp_eq_u64_e64 s[0:1], v[10:11], v[14:15]
	v_lshrrev_b64 v[10:11], v17, v[18:19]
	v_and_b32_e32 v18, 0x100000, v10
	v_cndmask_b32_e32 v13, v16, v26, vcc
	v_cmp_eq_u64_e32 vcc, 0, v[18:19]
	v_lshrrev_b32_e32 v14, 23, v10
	s_and_b64 vcc, vcc, s[0:1]
	v_add3_u32 v14, v13, v17, v14
	v_subbrev_co_u32_e32 v13, vcc, 0, v10, vcc
	v_and_b32_e32 v13, 0xfffff, v13
	v_add_co_u32_e32 v10, vcc, v13, v10
	v_add_u32_e32 v15, -1, v14
	v_addc_co_u32_e32 v11, vcc, 0, v11, vcc
	v_cmp_ne_u32_e32 vcc, 0, v15
                                        ; implicit-def: $vgpr13
	s_and_saveexec_b64 s[0:1], vcc
	s_xor_b64 s[0:1], exec, s[0:1]
; %bb.161:                              ;   in Loop: Header=BB10_29 Depth=1
	v_and_b32_e32 v18, 0x1000000, v10
	v_cmp_eq_u64_e32 vcc, 0, v[18:19]
	v_cndmask_b32_e32 v13, v14, v15, vcc
	v_bfe_u32 v14, v10, 24, 1
	v_lshrrev_b64 v[10:11], v14, v[10:11]
; %bb.162:                              ;   in Loop: Header=BB10_29 Depth=1
	s_andn2_saveexec_b64 s[0:1], s[0:1]
; %bb.163:                              ;   in Loop: Header=BB10_29 Depth=1
	v_bfe_u32 v13, v10, 23, 1
; %bb.164:                              ;   in Loop: Header=BB10_29 Depth=1
	s_or_b64 exec, exec, s[0:1]
	v_lshrrev_b64 v[10:11], 20, v[10:11]
	v_cmp_gt_i32_e32 vcc, 16, v13
	v_cndmask_b32_e32 v11, 0, v11, vcc
	v_cndmask_b32_e32 v10, 7, v10, vcc
	v_cmp_ne_u32_e32 vcc, 0, v13
	v_cmp_ne_u64_e64 s[0:1], 0, v[10:11]
	s_or_b64 s[0:1], vcc, s[0:1]
                                        ; implicit-def: $vgpr11
	s_and_saveexec_b64 s[28:29], s[0:1]
	s_xor_b64 s[0:1], exec, s[28:29]
; %bb.165:                              ;   in Loop: Header=BB10_29 Depth=1
	v_min_i32_e32 v11, 15, v13
	v_lshl_or_b32 v11, v11, 3, v12
	v_and_or_b32 v11, v10, 7, v11
                                        ; implicit-def: $vgpr12
; %bb.166:                              ;   in Loop: Header=BB10_29 Depth=1
	s_andn2_saveexec_b64 s[0:1], s[0:1]
; %bb.167:                              ;   in Loop: Header=BB10_29 Depth=1
	v_mov_b32_e32 v11, v12
; %bb.168:                              ;   in Loop: Header=BB10_29 Depth=1
	s_or_b64 exec, exec, s[0:1]
.LBB10_169:                             ;   in Loop: Header=BB10_29 Depth=1
	s_or_b64 exec, exec, s[16:17]
.LBB10_170:                             ;   in Loop: Header=BB10_29 Depth=1
	s_andn2_saveexec_b64 s[0:1], s[14:15]
	s_or_b64 exec, exec, s[0:1]
                                        ; implicit-def: $vgpr10
.LBB10_171:                             ;   in Loop: Header=BB10_29 Depth=1
	s_andn2_saveexec_b64 s[0:1], s[12:13]
; %bb.172:                              ;   in Loop: Header=BB10_29 Depth=1
	v_or_b32_sdwa v10, v10, s26 dst_sel:DWORD dst_unused:UNUSED_PAD src0_sel:BYTE_3 src1_sel:DWORD
	v_cmp_eq_u64_e32 vcc, 0, v[18:19]
	v_cndmask_b32_e32 v11, v10, v11, vcc
; %bb.173:                              ;   in Loop: Header=BB10_29 Depth=1
	s_or_b64 exec, exec, s[0:1]
	v_fma_mixlo_f16 v2, v1, v2, 0 op_sel:[0,1,0] op_sel_hi:[0,1,0]
	v_mul_f16_sdwa v2, v6, v2 dst_sel:DWORD dst_unused:UNUSED_PAD src0_sel:WORD_1 src1_sel:DWORD
	v_cvt_f32_f16_e32 v2, v2
	v_add_u32_e32 v6, 8, v21
	v_mov_b32_e32 v13, v19
	global_store_byte v6, v11, s[2:3]
	v_mul_f32_e32 v2, v24, v2
	v_min_f32_e32 v2, 0x43e00000, v2
	v_max_f32_e32 v10, 0xc3e00000, v2
	v_and_b32_sdwa v2, v10, s24 dst_sel:DWORD dst_unused:UNUSED_PAD src0_sel:BYTE_3 src1_sel:DWORD
	v_and_b32_e32 v12, 0x7f800000, v10
	v_and_b32_e32 v18, 0x7fffff, v10
	v_or_b32_e32 v6, 0x7e, v2
	v_cmp_ne_u64_e32 vcc, s[6:7], v[12:13]
	s_and_saveexec_b64 s[0:1], vcc
	s_xor_b64 s[12:13], exec, s[0:1]
	s_cbranch_execz .LBB10_187
; %bb.174:                              ;   in Loop: Header=BB10_29 Depth=1
	v_and_b32_e32 v12, 0x7fffffff, v10
	v_mov_b32_e32 v13, v19
	v_cmp_gt_u64_e32 vcc, s[10:11], v[12:13]
	s_and_saveexec_b64 s[0:1], vcc
	s_xor_b64 s[14:15], exec, s[0:1]
	s_cbranch_execz .LBB10_186
; %bb.175:                              ;   in Loop: Header=BB10_29 Depth=1
	v_cmp_ne_u32_e32 vcc, 0, v10
	v_mov_b32_e32 v6, 0
	s_and_saveexec_b64 s[16:17], vcc
	s_cbranch_execz .LBB10_185
; %bb.176:                              ;   in Loop: Header=BB10_29 Depth=1
	v_bfe_u32 v6, v10, 23, 8
	v_sub_u32_e64 v10, s25, v6 clamp
	v_cmp_eq_u32_e32 vcc, 0, v6
	v_add_u32_e32 v14, 0xffffff88, v6
	v_cndmask_b32_e32 v6, v10, v25, vcc
	v_or_b32_e32 v11, 0x800000, v18
	v_add_u32_e32 v10, 20, v6
	v_cndmask_b32_e32 v18, v11, v18, vcc
	v_lshlrev_b64 v[10:11], v10, -1
	v_not_b32_e32 v11, v11
	v_not_b32_e32 v10, v10
	v_add_u32_e32 v12, 19, v6
	v_and_b32_e32 v11, 0, v11
	v_and_b32_e32 v10, v18, v10
	v_lshlrev_b64 v[12:13], v12, 1
	v_cmp_eq_u64_e64 s[0:1], v[10:11], v[12:13]
	v_lshrrev_b64 v[10:11], v6, v[18:19]
	v_and_b32_e32 v18, 0x100000, v10
	v_cndmask_b32_e32 v12, v14, v26, vcc
	v_cmp_eq_u64_e32 vcc, 0, v[18:19]
	v_lshrrev_b32_e32 v13, 23, v10
	s_and_b64 vcc, vcc, s[0:1]
	v_add3_u32 v6, v12, v6, v13
	v_subbrev_co_u32_e32 v12, vcc, 0, v10, vcc
	v_and_b32_e32 v12, 0xfffff, v12
	v_add_co_u32_e32 v10, vcc, v12, v10
	v_add_u32_e32 v13, -1, v6
	v_addc_co_u32_e32 v11, vcc, 0, v11, vcc
	v_cmp_ne_u32_e32 vcc, 0, v13
                                        ; implicit-def: $vgpr12
	s_and_saveexec_b64 s[0:1], vcc
	s_xor_b64 s[0:1], exec, s[0:1]
; %bb.177:                              ;   in Loop: Header=BB10_29 Depth=1
	v_and_b32_e32 v18, 0x1000000, v10
	v_cmp_eq_u64_e32 vcc, 0, v[18:19]
	v_cndmask_b32_e32 v12, v6, v13, vcc
	v_bfe_u32 v6, v10, 24, 1
	v_lshrrev_b64 v[10:11], v6, v[10:11]
; %bb.178:                              ;   in Loop: Header=BB10_29 Depth=1
	s_andn2_saveexec_b64 s[0:1], s[0:1]
; %bb.179:                              ;   in Loop: Header=BB10_29 Depth=1
	v_bfe_u32 v12, v10, 23, 1
; %bb.180:                              ;   in Loop: Header=BB10_29 Depth=1
	s_or_b64 exec, exec, s[0:1]
	v_lshrrev_b64 v[10:11], 20, v[10:11]
	v_cmp_gt_i32_e32 vcc, 16, v12
	v_cndmask_b32_e32 v11, 0, v11, vcc
	v_cndmask_b32_e32 v10, 7, v10, vcc
	v_cmp_ne_u32_e32 vcc, 0, v12
	v_cmp_ne_u64_e64 s[0:1], 0, v[10:11]
	s_or_b64 s[0:1], vcc, s[0:1]
                                        ; implicit-def: $vgpr6
	s_and_saveexec_b64 s[28:29], s[0:1]
	s_xor_b64 s[0:1], exec, s[28:29]
; %bb.181:                              ;   in Loop: Header=BB10_29 Depth=1
	v_min_i32_e32 v6, 15, v12
	v_lshl_or_b32 v2, v6, 3, v2
	v_and_or_b32 v6, v10, 7, v2
                                        ; implicit-def: $vgpr2
; %bb.182:                              ;   in Loop: Header=BB10_29 Depth=1
	s_andn2_saveexec_b64 s[0:1], s[0:1]
; %bb.183:                              ;   in Loop: Header=BB10_29 Depth=1
	v_mov_b32_e32 v6, v2
; %bb.184:                              ;   in Loop: Header=BB10_29 Depth=1
	s_or_b64 exec, exec, s[0:1]
.LBB10_185:                             ;   in Loop: Header=BB10_29 Depth=1
	s_or_b64 exec, exec, s[16:17]
.LBB10_186:                             ;   in Loop: Header=BB10_29 Depth=1
	s_andn2_saveexec_b64 s[0:1], s[14:15]
	s_or_b64 exec, exec, s[0:1]
                                        ; implicit-def: $vgpr10
.LBB10_187:                             ;   in Loop: Header=BB10_29 Depth=1
	s_andn2_saveexec_b64 s[0:1], s[12:13]
; %bb.188:                              ;   in Loop: Header=BB10_29 Depth=1
	v_or_b32_sdwa v2, v10, s26 dst_sel:DWORD dst_unused:UNUSED_PAD src0_sel:BYTE_3 src1_sel:DWORD
	v_cmp_eq_u64_e32 vcc, 0, v[18:19]
	v_cndmask_b32_e32 v6, v2, v6, vcc
; %bb.189:                              ;   in Loop: Header=BB10_29 Depth=1
	s_or_b64 exec, exec, s[0:1]
	v_fma_mixlo_f16 v2, v1, v3, 0 op_sel_hi:[0,1,0]
	v_mul_f16_e32 v2, v7, v2
	v_cvt_f32_f16_e32 v2, v2
	v_add_u32_e32 v10, 9, v21
	global_store_byte v10, v6, s[2:3]
	v_mov_b32_e32 v13, v19
	v_mul_f32_e32 v2, v24, v2
	v_min_f32_e32 v2, 0x43e00000, v2
	v_max_f32_e32 v10, 0xc3e00000, v2
	v_and_b32_sdwa v2, v10, s24 dst_sel:DWORD dst_unused:UNUSED_PAD src0_sel:BYTE_3 src1_sel:DWORD
	v_and_b32_e32 v12, 0x7f800000, v10
	v_and_b32_e32 v18, 0x7fffff, v10
	v_or_b32_e32 v6, 0x7e, v2
	v_cmp_ne_u64_e32 vcc, s[6:7], v[12:13]
	s_and_saveexec_b64 s[0:1], vcc
	s_xor_b64 s[12:13], exec, s[0:1]
	s_cbranch_execz .LBB10_203
; %bb.190:                              ;   in Loop: Header=BB10_29 Depth=1
	v_and_b32_e32 v12, 0x7fffffff, v10
	v_mov_b32_e32 v13, v19
	v_cmp_gt_u64_e32 vcc, s[10:11], v[12:13]
	s_and_saveexec_b64 s[0:1], vcc
	s_xor_b64 s[14:15], exec, s[0:1]
	s_cbranch_execz .LBB10_202
; %bb.191:                              ;   in Loop: Header=BB10_29 Depth=1
	v_cmp_ne_u32_e32 vcc, 0, v10
	v_mov_b32_e32 v6, 0
	s_and_saveexec_b64 s[16:17], vcc
	s_cbranch_execz .LBB10_201
; %bb.192:                              ;   in Loop: Header=BB10_29 Depth=1
	v_bfe_u32 v6, v10, 23, 8
	v_sub_u32_e64 v10, s25, v6 clamp
	v_cmp_eq_u32_e32 vcc, 0, v6
	v_add_u32_e32 v14, 0xffffff88, v6
	v_cndmask_b32_e32 v6, v10, v25, vcc
	v_or_b32_e32 v11, 0x800000, v18
	v_add_u32_e32 v10, 20, v6
	v_cndmask_b32_e32 v18, v11, v18, vcc
	v_lshlrev_b64 v[10:11], v10, -1
	v_not_b32_e32 v11, v11
	v_not_b32_e32 v10, v10
	v_add_u32_e32 v12, 19, v6
	v_and_b32_e32 v11, 0, v11
	v_and_b32_e32 v10, v18, v10
	v_lshlrev_b64 v[12:13], v12, 1
	v_cmp_eq_u64_e64 s[0:1], v[10:11], v[12:13]
	v_lshrrev_b64 v[10:11], v6, v[18:19]
	v_and_b32_e32 v18, 0x100000, v10
	v_cndmask_b32_e32 v12, v14, v26, vcc
	v_cmp_eq_u64_e32 vcc, 0, v[18:19]
	v_lshrrev_b32_e32 v13, 23, v10
	s_and_b64 vcc, vcc, s[0:1]
	v_add3_u32 v6, v12, v6, v13
	v_subbrev_co_u32_e32 v12, vcc, 0, v10, vcc
	v_and_b32_e32 v12, 0xfffff, v12
	v_add_co_u32_e32 v10, vcc, v12, v10
	v_add_u32_e32 v13, -1, v6
	v_addc_co_u32_e32 v11, vcc, 0, v11, vcc
	v_cmp_ne_u32_e32 vcc, 0, v13
                                        ; implicit-def: $vgpr12
	s_and_saveexec_b64 s[0:1], vcc
	s_xor_b64 s[0:1], exec, s[0:1]
; %bb.193:                              ;   in Loop: Header=BB10_29 Depth=1
	v_and_b32_e32 v18, 0x1000000, v10
	v_cmp_eq_u64_e32 vcc, 0, v[18:19]
	v_cndmask_b32_e32 v12, v6, v13, vcc
	v_bfe_u32 v6, v10, 24, 1
	v_lshrrev_b64 v[10:11], v6, v[10:11]
; %bb.194:                              ;   in Loop: Header=BB10_29 Depth=1
	s_andn2_saveexec_b64 s[0:1], s[0:1]
; %bb.195:                              ;   in Loop: Header=BB10_29 Depth=1
	v_bfe_u32 v12, v10, 23, 1
; %bb.196:                              ;   in Loop: Header=BB10_29 Depth=1
	s_or_b64 exec, exec, s[0:1]
	v_lshrrev_b64 v[10:11], 20, v[10:11]
	v_cmp_gt_i32_e32 vcc, 16, v12
	v_cndmask_b32_e32 v11, 0, v11, vcc
	v_cndmask_b32_e32 v10, 7, v10, vcc
	v_cmp_ne_u32_e32 vcc, 0, v12
	v_cmp_ne_u64_e64 s[0:1], 0, v[10:11]
	s_or_b64 s[0:1], vcc, s[0:1]
                                        ; implicit-def: $vgpr6
	s_and_saveexec_b64 s[28:29], s[0:1]
	s_xor_b64 s[0:1], exec, s[28:29]
; %bb.197:                              ;   in Loop: Header=BB10_29 Depth=1
	v_min_i32_e32 v6, 15, v12
	v_lshl_or_b32 v2, v6, 3, v2
	v_and_or_b32 v6, v10, 7, v2
                                        ; implicit-def: $vgpr2
; %bb.198:                              ;   in Loop: Header=BB10_29 Depth=1
	s_andn2_saveexec_b64 s[0:1], s[0:1]
; %bb.199:                              ;   in Loop: Header=BB10_29 Depth=1
	v_mov_b32_e32 v6, v2
; %bb.200:                              ;   in Loop: Header=BB10_29 Depth=1
	s_or_b64 exec, exec, s[0:1]
.LBB10_201:                             ;   in Loop: Header=BB10_29 Depth=1
	s_or_b64 exec, exec, s[16:17]
.LBB10_202:                             ;   in Loop: Header=BB10_29 Depth=1
	s_andn2_saveexec_b64 s[0:1], s[14:15]
	s_or_b64 exec, exec, s[0:1]
                                        ; implicit-def: $vgpr10
.LBB10_203:                             ;   in Loop: Header=BB10_29 Depth=1
	s_andn2_saveexec_b64 s[0:1], s[12:13]
; %bb.204:                              ;   in Loop: Header=BB10_29 Depth=1
	v_or_b32_sdwa v2, v10, s26 dst_sel:DWORD dst_unused:UNUSED_PAD src0_sel:BYTE_3 src1_sel:DWORD
	v_cmp_eq_u64_e32 vcc, 0, v[18:19]
	v_cndmask_b32_e32 v6, v2, v6, vcc
; %bb.205:                              ;   in Loop: Header=BB10_29 Depth=1
	s_or_b64 exec, exec, s[0:1]
	v_fma_mixlo_f16 v2, v1, v3, 0 op_sel:[0,1,0] op_sel_hi:[0,1,0]
	v_mul_f16_sdwa v2, v7, v2 dst_sel:DWORD dst_unused:UNUSED_PAD src0_sel:WORD_1 src1_sel:DWORD
	v_cvt_f32_f16_e32 v2, v2
	v_add_u32_e32 v3, 10, v21
	global_store_byte v3, v6, s[2:3]
	v_mov_b32_e32 v11, v19
	v_mul_f32_e32 v2, v24, v2
	v_min_f32_e32 v2, 0x43e00000, v2
	v_max_f32_e32 v2, 0xc3e00000, v2
	v_and_b32_sdwa v6, v2, s24 dst_sel:DWORD dst_unused:UNUSED_PAD src0_sel:BYTE_3 src1_sel:DWORD
	v_and_b32_e32 v10, 0x7f800000, v2
	v_and_b32_e32 v18, 0x7fffff, v2
	v_or_b32_e32 v3, 0x7e, v6
	v_cmp_ne_u64_e32 vcc, s[6:7], v[10:11]
	s_and_saveexec_b64 s[0:1], vcc
	s_xor_b64 s[12:13], exec, s[0:1]
	s_cbranch_execz .LBB10_219
; %bb.206:                              ;   in Loop: Header=BB10_29 Depth=1
	v_and_b32_e32 v10, 0x7fffffff, v2
	v_mov_b32_e32 v11, v19
	v_cmp_gt_u64_e32 vcc, s[10:11], v[10:11]
	s_and_saveexec_b64 s[0:1], vcc
	s_xor_b64 s[14:15], exec, s[0:1]
	s_cbranch_execz .LBB10_218
; %bb.207:                              ;   in Loop: Header=BB10_29 Depth=1
	v_cmp_ne_u32_e32 vcc, 0, v2
	v_mov_b32_e32 v3, 0
	s_and_saveexec_b64 s[16:17], vcc
	s_cbranch_execz .LBB10_217
; %bb.208:                              ;   in Loop: Header=BB10_29 Depth=1
	v_bfe_u32 v2, v2, 23, 8
	v_sub_u32_e64 v3, s25, v2 clamp
	v_cmp_eq_u32_e32 vcc, 0, v2
	v_cndmask_b32_e32 v13, v3, v25, vcc
	v_add_u32_e32 v12, 0xffffff88, v2
	v_add_u32_e32 v2, 20, v13
	v_or_b32_e32 v7, 0x800000, v18
	v_lshlrev_b64 v[2:3], v2, -1
	v_cndmask_b32_e32 v18, v7, v18, vcc
	v_not_b32_e32 v3, v3
	v_not_b32_e32 v2, v2
	v_add_u32_e32 v7, 19, v13
	v_and_b32_e32 v3, 0, v3
	v_and_b32_e32 v2, v18, v2
	v_lshlrev_b64 v[10:11], v7, 1
	v_cmp_eq_u64_e64 s[0:1], v[2:3], v[10:11]
	v_lshrrev_b64 v[2:3], v13, v[18:19]
	v_and_b32_e32 v18, 0x100000, v2
	v_cndmask_b32_e32 v7, v12, v26, vcc
	v_cmp_eq_u64_e32 vcc, 0, v[18:19]
	v_lshrrev_b32_e32 v10, 23, v2
	s_and_b64 vcc, vcc, s[0:1]
	v_add3_u32 v10, v7, v13, v10
	v_subbrev_co_u32_e32 v7, vcc, 0, v2, vcc
	v_and_b32_e32 v7, 0xfffff, v7
	v_add_co_u32_e32 v2, vcc, v7, v2
	v_add_u32_e32 v11, -1, v10
	v_addc_co_u32_e32 v3, vcc, 0, v3, vcc
	v_cmp_ne_u32_e32 vcc, 0, v11
                                        ; implicit-def: $vgpr7
	s_and_saveexec_b64 s[0:1], vcc
	s_xor_b64 s[0:1], exec, s[0:1]
; %bb.209:                              ;   in Loop: Header=BB10_29 Depth=1
	v_and_b32_e32 v18, 0x1000000, v2
	v_cmp_eq_u64_e32 vcc, 0, v[18:19]
	v_cndmask_b32_e32 v7, v10, v11, vcc
	v_bfe_u32 v10, v2, 24, 1
	v_lshrrev_b64 v[2:3], v10, v[2:3]
; %bb.210:                              ;   in Loop: Header=BB10_29 Depth=1
	s_andn2_saveexec_b64 s[0:1], s[0:1]
; %bb.211:                              ;   in Loop: Header=BB10_29 Depth=1
	v_bfe_u32 v7, v2, 23, 1
; %bb.212:                              ;   in Loop: Header=BB10_29 Depth=1
	s_or_b64 exec, exec, s[0:1]
	v_lshrrev_b64 v[2:3], 20, v[2:3]
	v_cmp_gt_i32_e32 vcc, 16, v7
	v_cndmask_b32_e32 v3, 0, v3, vcc
	v_cndmask_b32_e32 v2, 7, v2, vcc
	v_cmp_ne_u32_e32 vcc, 0, v7
	v_cmp_ne_u64_e64 s[0:1], 0, v[2:3]
	s_or_b64 s[0:1], vcc, s[0:1]
                                        ; implicit-def: $vgpr3
	s_and_saveexec_b64 s[28:29], s[0:1]
	s_xor_b64 s[0:1], exec, s[28:29]
; %bb.213:                              ;   in Loop: Header=BB10_29 Depth=1
	v_min_i32_e32 v3, 15, v7
	v_lshl_or_b32 v3, v3, 3, v6
	v_and_or_b32 v3, v2, 7, v3
                                        ; implicit-def: $vgpr6
; %bb.214:                              ;   in Loop: Header=BB10_29 Depth=1
	s_andn2_saveexec_b64 s[0:1], s[0:1]
; %bb.215:                              ;   in Loop: Header=BB10_29 Depth=1
	v_mov_b32_e32 v3, v6
; %bb.216:                              ;   in Loop: Header=BB10_29 Depth=1
	s_or_b64 exec, exec, s[0:1]
.LBB10_217:                             ;   in Loop: Header=BB10_29 Depth=1
	s_or_b64 exec, exec, s[16:17]
.LBB10_218:                             ;   in Loop: Header=BB10_29 Depth=1
	s_andn2_saveexec_b64 s[0:1], s[14:15]
	s_or_b64 exec, exec, s[0:1]
                                        ; implicit-def: $vgpr2
.LBB10_219:                             ;   in Loop: Header=BB10_29 Depth=1
	s_andn2_saveexec_b64 s[0:1], s[12:13]
; %bb.220:                              ;   in Loop: Header=BB10_29 Depth=1
	v_or_b32_sdwa v2, v2, s26 dst_sel:DWORD dst_unused:UNUSED_PAD src0_sel:BYTE_3 src1_sel:DWORD
	v_cmp_eq_u64_e32 vcc, 0, v[18:19]
	v_cndmask_b32_e32 v3, v2, v3, vcc
; %bb.221:                              ;   in Loop: Header=BB10_29 Depth=1
	s_or_b64 exec, exec, s[0:1]
	v_fma_mixlo_f16 v2, v1, v4, 0 op_sel_hi:[0,1,0]
	v_mul_f16_e32 v2, v8, v2
	v_cvt_f32_f16_e32 v2, v2
	v_add_u32_e32 v6, 11, v21
	global_store_byte v6, v3, s[2:3]
	v_mov_b32_e32 v11, v19
	v_mul_f32_e32 v2, v24, v2
	v_min_f32_e32 v2, 0x43e00000, v2
	v_max_f32_e32 v2, 0xc3e00000, v2
	v_and_b32_sdwa v6, v2, s24 dst_sel:DWORD dst_unused:UNUSED_PAD src0_sel:BYTE_3 src1_sel:DWORD
	v_and_b32_e32 v10, 0x7f800000, v2
	v_and_b32_e32 v18, 0x7fffff, v2
	v_or_b32_e32 v3, 0x7e, v6
	v_cmp_ne_u64_e32 vcc, s[6:7], v[10:11]
	s_and_saveexec_b64 s[0:1], vcc
	s_xor_b64 s[12:13], exec, s[0:1]
	s_cbranch_execz .LBB10_235
; %bb.222:                              ;   in Loop: Header=BB10_29 Depth=1
	v_and_b32_e32 v10, 0x7fffffff, v2
	v_mov_b32_e32 v11, v19
	v_cmp_gt_u64_e32 vcc, s[10:11], v[10:11]
	s_and_saveexec_b64 s[0:1], vcc
	s_xor_b64 s[14:15], exec, s[0:1]
	s_cbranch_execz .LBB10_234
; %bb.223:                              ;   in Loop: Header=BB10_29 Depth=1
	v_cmp_ne_u32_e32 vcc, 0, v2
	v_mov_b32_e32 v3, 0
	s_and_saveexec_b64 s[16:17], vcc
	s_cbranch_execz .LBB10_233
; %bb.224:                              ;   in Loop: Header=BB10_29 Depth=1
	v_bfe_u32 v2, v2, 23, 8
	v_sub_u32_e64 v3, s25, v2 clamp
	v_cmp_eq_u32_e32 vcc, 0, v2
	v_cndmask_b32_e32 v13, v3, v25, vcc
	v_add_u32_e32 v12, 0xffffff88, v2
	v_add_u32_e32 v2, 20, v13
	v_or_b32_e32 v7, 0x800000, v18
	v_lshlrev_b64 v[2:3], v2, -1
	v_cndmask_b32_e32 v18, v7, v18, vcc
	v_not_b32_e32 v3, v3
	v_not_b32_e32 v2, v2
	v_add_u32_e32 v7, 19, v13
	v_and_b32_e32 v3, 0, v3
	v_and_b32_e32 v2, v18, v2
	v_lshlrev_b64 v[10:11], v7, 1
	v_cmp_eq_u64_e64 s[0:1], v[2:3], v[10:11]
	v_lshrrev_b64 v[2:3], v13, v[18:19]
	v_and_b32_e32 v18, 0x100000, v2
	v_cndmask_b32_e32 v7, v12, v26, vcc
	v_cmp_eq_u64_e32 vcc, 0, v[18:19]
	v_lshrrev_b32_e32 v10, 23, v2
	s_and_b64 vcc, vcc, s[0:1]
	v_add3_u32 v10, v7, v13, v10
	v_subbrev_co_u32_e32 v7, vcc, 0, v2, vcc
	v_and_b32_e32 v7, 0xfffff, v7
	v_add_co_u32_e32 v2, vcc, v7, v2
	v_add_u32_e32 v11, -1, v10
	v_addc_co_u32_e32 v3, vcc, 0, v3, vcc
	v_cmp_ne_u32_e32 vcc, 0, v11
                                        ; implicit-def: $vgpr7
	s_and_saveexec_b64 s[0:1], vcc
	s_xor_b64 s[0:1], exec, s[0:1]
; %bb.225:                              ;   in Loop: Header=BB10_29 Depth=1
	v_and_b32_e32 v18, 0x1000000, v2
	v_cmp_eq_u64_e32 vcc, 0, v[18:19]
	v_cndmask_b32_e32 v7, v10, v11, vcc
	v_bfe_u32 v10, v2, 24, 1
	v_lshrrev_b64 v[2:3], v10, v[2:3]
; %bb.226:                              ;   in Loop: Header=BB10_29 Depth=1
	s_andn2_saveexec_b64 s[0:1], s[0:1]
; %bb.227:                              ;   in Loop: Header=BB10_29 Depth=1
	v_bfe_u32 v7, v2, 23, 1
; %bb.228:                              ;   in Loop: Header=BB10_29 Depth=1
	s_or_b64 exec, exec, s[0:1]
	v_lshrrev_b64 v[2:3], 20, v[2:3]
	v_cmp_gt_i32_e32 vcc, 16, v7
	v_cndmask_b32_e32 v3, 0, v3, vcc
	v_cndmask_b32_e32 v2, 7, v2, vcc
	v_cmp_ne_u32_e32 vcc, 0, v7
	v_cmp_ne_u64_e64 s[0:1], 0, v[2:3]
	s_or_b64 s[0:1], vcc, s[0:1]
                                        ; implicit-def: $vgpr3
	s_and_saveexec_b64 s[28:29], s[0:1]
	s_xor_b64 s[0:1], exec, s[28:29]
; %bb.229:                              ;   in Loop: Header=BB10_29 Depth=1
	v_min_i32_e32 v3, 15, v7
	v_lshl_or_b32 v3, v3, 3, v6
	v_and_or_b32 v3, v2, 7, v3
                                        ; implicit-def: $vgpr6
; %bb.230:                              ;   in Loop: Header=BB10_29 Depth=1
	s_andn2_saveexec_b64 s[0:1], s[0:1]
; %bb.231:                              ;   in Loop: Header=BB10_29 Depth=1
	v_mov_b32_e32 v3, v6
; %bb.232:                              ;   in Loop: Header=BB10_29 Depth=1
	s_or_b64 exec, exec, s[0:1]
.LBB10_233:                             ;   in Loop: Header=BB10_29 Depth=1
	s_or_b64 exec, exec, s[16:17]
.LBB10_234:                             ;   in Loop: Header=BB10_29 Depth=1
	s_andn2_saveexec_b64 s[0:1], s[14:15]
	s_or_b64 exec, exec, s[0:1]
                                        ; implicit-def: $vgpr2
.LBB10_235:                             ;   in Loop: Header=BB10_29 Depth=1
	s_andn2_saveexec_b64 s[0:1], s[12:13]
; %bb.236:                              ;   in Loop: Header=BB10_29 Depth=1
	v_or_b32_sdwa v2, v2, s26 dst_sel:DWORD dst_unused:UNUSED_PAD src0_sel:BYTE_3 src1_sel:DWORD
	v_cmp_eq_u64_e32 vcc, 0, v[18:19]
	v_cndmask_b32_e32 v3, v2, v3, vcc
; %bb.237:                              ;   in Loop: Header=BB10_29 Depth=1
	s_or_b64 exec, exec, s[0:1]
	v_fma_mixlo_f16 v2, v1, v4, 0 op_sel:[0,1,0] op_sel_hi:[0,1,0]
	v_mul_f16_sdwa v2, v8, v2 dst_sel:DWORD dst_unused:UNUSED_PAD src0_sel:WORD_1 src1_sel:DWORD
	v_cvt_f32_f16_e32 v2, v2
	v_add_u32_e32 v4, 12, v21
	global_store_byte v4, v3, s[2:3]
	v_mov_b32_e32 v7, v19
	v_mul_f32_e32 v2, v24, v2
	v_min_f32_e32 v2, 0x43e00000, v2
	v_max_f32_e32 v2, 0xc3e00000, v2
	v_and_b32_sdwa v4, v2, s24 dst_sel:DWORD dst_unused:UNUSED_PAD src0_sel:BYTE_3 src1_sel:DWORD
	v_and_b32_e32 v6, 0x7f800000, v2
	v_and_b32_e32 v18, 0x7fffff, v2
	v_or_b32_e32 v3, 0x7e, v4
	v_cmp_ne_u64_e32 vcc, s[6:7], v[6:7]
	s_and_saveexec_b64 s[0:1], vcc
	s_xor_b64 s[12:13], exec, s[0:1]
	s_cbranch_execz .LBB10_251
; %bb.238:                              ;   in Loop: Header=BB10_29 Depth=1
	v_and_b32_e32 v6, 0x7fffffff, v2
	v_mov_b32_e32 v7, v19
	v_cmp_gt_u64_e32 vcc, s[10:11], v[6:7]
	s_and_saveexec_b64 s[0:1], vcc
	s_xor_b64 s[14:15], exec, s[0:1]
	s_cbranch_execz .LBB10_250
; %bb.239:                              ;   in Loop: Header=BB10_29 Depth=1
	v_cmp_ne_u32_e32 vcc, 0, v2
	v_mov_b32_e32 v3, 0
	s_and_saveexec_b64 s[16:17], vcc
	s_cbranch_execz .LBB10_249
; %bb.240:                              ;   in Loop: Header=BB10_29 Depth=1
	v_bfe_u32 v2, v2, 23, 8
	v_sub_u32_e64 v3, s25, v2 clamp
	v_cmp_eq_u32_e32 vcc, 0, v2
	v_cndmask_b32_e32 v10, v3, v25, vcc
	v_add_u32_e32 v8, 0xffffff88, v2
	v_add_u32_e32 v2, 20, v10
	v_or_b32_e32 v6, 0x800000, v18
	v_lshlrev_b64 v[2:3], v2, -1
	v_cndmask_b32_e32 v18, v6, v18, vcc
	v_not_b32_e32 v3, v3
	v_not_b32_e32 v2, v2
	v_add_u32_e32 v6, 19, v10
	v_and_b32_e32 v3, 0, v3
	v_and_b32_e32 v2, v18, v2
	v_lshlrev_b64 v[6:7], v6, 1
	v_cmp_eq_u64_e64 s[0:1], v[2:3], v[6:7]
	v_lshrrev_b64 v[2:3], v10, v[18:19]
	v_and_b32_e32 v18, 0x100000, v2
	v_cndmask_b32_e32 v6, v8, v26, vcc
	v_cmp_eq_u64_e32 vcc, 0, v[18:19]
	v_lshrrev_b32_e32 v7, 23, v2
	s_and_b64 vcc, vcc, s[0:1]
	v_add3_u32 v7, v6, v10, v7
	v_subbrev_co_u32_e32 v6, vcc, 0, v2, vcc
	v_and_b32_e32 v6, 0xfffff, v6
	v_add_co_u32_e32 v2, vcc, v6, v2
	v_add_u32_e32 v8, -1, v7
	v_addc_co_u32_e32 v3, vcc, 0, v3, vcc
	v_cmp_ne_u32_e32 vcc, 0, v8
                                        ; implicit-def: $vgpr6
	s_and_saveexec_b64 s[0:1], vcc
	s_xor_b64 s[0:1], exec, s[0:1]
; %bb.241:                              ;   in Loop: Header=BB10_29 Depth=1
	v_and_b32_e32 v18, 0x1000000, v2
	v_cmp_eq_u64_e32 vcc, 0, v[18:19]
	v_cndmask_b32_e32 v6, v7, v8, vcc
	v_bfe_u32 v7, v2, 24, 1
	v_lshrrev_b64 v[2:3], v7, v[2:3]
; %bb.242:                              ;   in Loop: Header=BB10_29 Depth=1
	s_andn2_saveexec_b64 s[0:1], s[0:1]
; %bb.243:                              ;   in Loop: Header=BB10_29 Depth=1
	v_bfe_u32 v6, v2, 23, 1
; %bb.244:                              ;   in Loop: Header=BB10_29 Depth=1
	s_or_b64 exec, exec, s[0:1]
	v_lshrrev_b64 v[2:3], 20, v[2:3]
	v_cmp_gt_i32_e32 vcc, 16, v6
	v_cndmask_b32_e32 v3, 0, v3, vcc
	v_cndmask_b32_e32 v2, 7, v2, vcc
	v_cmp_ne_u32_e32 vcc, 0, v6
	v_cmp_ne_u64_e64 s[0:1], 0, v[2:3]
	s_or_b64 s[0:1], vcc, s[0:1]
                                        ; implicit-def: $vgpr3
	s_and_saveexec_b64 s[28:29], s[0:1]
	s_xor_b64 s[0:1], exec, s[28:29]
; %bb.245:                              ;   in Loop: Header=BB10_29 Depth=1
	v_min_i32_e32 v3, 15, v6
	v_lshl_or_b32 v3, v3, 3, v4
	v_and_or_b32 v3, v2, 7, v3
                                        ; implicit-def: $vgpr4
; %bb.246:                              ;   in Loop: Header=BB10_29 Depth=1
	s_andn2_saveexec_b64 s[0:1], s[0:1]
; %bb.247:                              ;   in Loop: Header=BB10_29 Depth=1
	v_mov_b32_e32 v3, v4
; %bb.248:                              ;   in Loop: Header=BB10_29 Depth=1
	s_or_b64 exec, exec, s[0:1]
.LBB10_249:                             ;   in Loop: Header=BB10_29 Depth=1
	s_or_b64 exec, exec, s[16:17]
.LBB10_250:                             ;   in Loop: Header=BB10_29 Depth=1
	s_andn2_saveexec_b64 s[0:1], s[14:15]
	s_or_b64 exec, exec, s[0:1]
                                        ; implicit-def: $vgpr2
.LBB10_251:                             ;   in Loop: Header=BB10_29 Depth=1
	s_andn2_saveexec_b64 s[0:1], s[12:13]
; %bb.252:                              ;   in Loop: Header=BB10_29 Depth=1
	v_or_b32_sdwa v2, v2, s26 dst_sel:DWORD dst_unused:UNUSED_PAD src0_sel:BYTE_3 src1_sel:DWORD
	v_cmp_eq_u64_e32 vcc, 0, v[18:19]
	v_cndmask_b32_e32 v3, v2, v3, vcc
; %bb.253:                              ;   in Loop: Header=BB10_29 Depth=1
	s_or_b64 exec, exec, s[0:1]
	v_fma_mixlo_f16 v2, v1, v5, 0 op_sel_hi:[0,1,0]
	v_mul_f16_e32 v2, v9, v2
	v_cvt_f32_f16_e32 v2, v2
	v_add_u32_e32 v4, 13, v21
	global_store_byte v4, v3, s[2:3]
	v_mov_b32_e32 v7, v19
	v_mul_f32_e32 v2, v24, v2
	v_min_f32_e32 v2, 0x43e00000, v2
	v_max_f32_e32 v2, 0xc3e00000, v2
	v_and_b32_sdwa v4, v2, s24 dst_sel:DWORD dst_unused:UNUSED_PAD src0_sel:BYTE_3 src1_sel:DWORD
	v_and_b32_e32 v6, 0x7f800000, v2
	v_and_b32_e32 v18, 0x7fffff, v2
	v_or_b32_e32 v3, 0x7e, v4
	v_cmp_ne_u64_e32 vcc, s[6:7], v[6:7]
	s_and_saveexec_b64 s[0:1], vcc
	s_xor_b64 s[12:13], exec, s[0:1]
	s_cbranch_execz .LBB10_267
; %bb.254:                              ;   in Loop: Header=BB10_29 Depth=1
	v_and_b32_e32 v6, 0x7fffffff, v2
	v_mov_b32_e32 v7, v19
	v_cmp_gt_u64_e32 vcc, s[10:11], v[6:7]
	s_and_saveexec_b64 s[0:1], vcc
	s_xor_b64 s[14:15], exec, s[0:1]
	s_cbranch_execz .LBB10_266
; %bb.255:                              ;   in Loop: Header=BB10_29 Depth=1
	v_cmp_ne_u32_e32 vcc, 0, v2
	v_mov_b32_e32 v3, 0
	s_and_saveexec_b64 s[16:17], vcc
	s_cbranch_execz .LBB10_265
; %bb.256:                              ;   in Loop: Header=BB10_29 Depth=1
	v_bfe_u32 v2, v2, 23, 8
	v_sub_u32_e64 v3, s25, v2 clamp
	v_cmp_eq_u32_e32 vcc, 0, v2
	v_cndmask_b32_e32 v10, v3, v25, vcc
	v_add_u32_e32 v8, 0xffffff88, v2
	v_add_u32_e32 v2, 20, v10
	v_or_b32_e32 v6, 0x800000, v18
	v_lshlrev_b64 v[2:3], v2, -1
	v_cndmask_b32_e32 v18, v6, v18, vcc
	v_not_b32_e32 v3, v3
	v_not_b32_e32 v2, v2
	v_add_u32_e32 v6, 19, v10
	v_and_b32_e32 v3, 0, v3
	v_and_b32_e32 v2, v18, v2
	v_lshlrev_b64 v[6:7], v6, 1
	v_cmp_eq_u64_e64 s[0:1], v[2:3], v[6:7]
	v_lshrrev_b64 v[2:3], v10, v[18:19]
	v_and_b32_e32 v18, 0x100000, v2
	v_cndmask_b32_e32 v6, v8, v26, vcc
	v_cmp_eq_u64_e32 vcc, 0, v[18:19]
	v_lshrrev_b32_e32 v7, 23, v2
	s_and_b64 vcc, vcc, s[0:1]
	v_add3_u32 v7, v6, v10, v7
	v_subbrev_co_u32_e32 v6, vcc, 0, v2, vcc
	v_and_b32_e32 v6, 0xfffff, v6
	v_add_co_u32_e32 v2, vcc, v6, v2
	v_add_u32_e32 v8, -1, v7
	v_addc_co_u32_e32 v3, vcc, 0, v3, vcc
	v_cmp_ne_u32_e32 vcc, 0, v8
                                        ; implicit-def: $vgpr6
	s_and_saveexec_b64 s[0:1], vcc
	s_xor_b64 s[0:1], exec, s[0:1]
; %bb.257:                              ;   in Loop: Header=BB10_29 Depth=1
	v_and_b32_e32 v18, 0x1000000, v2
	v_cmp_eq_u64_e32 vcc, 0, v[18:19]
	v_cndmask_b32_e32 v6, v7, v8, vcc
	v_bfe_u32 v7, v2, 24, 1
	v_lshrrev_b64 v[2:3], v7, v[2:3]
; %bb.258:                              ;   in Loop: Header=BB10_29 Depth=1
	s_andn2_saveexec_b64 s[0:1], s[0:1]
; %bb.259:                              ;   in Loop: Header=BB10_29 Depth=1
	v_bfe_u32 v6, v2, 23, 1
; %bb.260:                              ;   in Loop: Header=BB10_29 Depth=1
	s_or_b64 exec, exec, s[0:1]
	v_lshrrev_b64 v[2:3], 20, v[2:3]
	v_cmp_gt_i32_e32 vcc, 16, v6
	v_cndmask_b32_e32 v3, 0, v3, vcc
	v_cndmask_b32_e32 v2, 7, v2, vcc
	v_cmp_ne_u32_e32 vcc, 0, v6
	v_cmp_ne_u64_e64 s[0:1], 0, v[2:3]
	s_or_b64 s[0:1], vcc, s[0:1]
                                        ; implicit-def: $vgpr3
	s_and_saveexec_b64 s[28:29], s[0:1]
	s_xor_b64 s[0:1], exec, s[28:29]
; %bb.261:                              ;   in Loop: Header=BB10_29 Depth=1
	v_min_i32_e32 v3, 15, v6
	v_lshl_or_b32 v3, v3, 3, v4
	v_and_or_b32 v3, v2, 7, v3
                                        ; implicit-def: $vgpr4
; %bb.262:                              ;   in Loop: Header=BB10_29 Depth=1
	s_andn2_saveexec_b64 s[0:1], s[0:1]
; %bb.263:                              ;   in Loop: Header=BB10_29 Depth=1
	v_mov_b32_e32 v3, v4
; %bb.264:                              ;   in Loop: Header=BB10_29 Depth=1
	s_or_b64 exec, exec, s[0:1]
.LBB10_265:                             ;   in Loop: Header=BB10_29 Depth=1
	s_or_b64 exec, exec, s[16:17]
.LBB10_266:                             ;   in Loop: Header=BB10_29 Depth=1
	s_andn2_saveexec_b64 s[0:1], s[14:15]
	s_or_b64 exec, exec, s[0:1]
                                        ; implicit-def: $vgpr2
.LBB10_267:                             ;   in Loop: Header=BB10_29 Depth=1
	s_andn2_saveexec_b64 s[0:1], s[12:13]
; %bb.268:                              ;   in Loop: Header=BB10_29 Depth=1
	v_or_b32_sdwa v2, v2, s26 dst_sel:DWORD dst_unused:UNUSED_PAD src0_sel:BYTE_3 src1_sel:DWORD
	v_cmp_eq_u64_e32 vcc, 0, v[18:19]
	v_cndmask_b32_e32 v3, v2, v3, vcc
; %bb.269:                              ;   in Loop: Header=BB10_29 Depth=1
	s_or_b64 exec, exec, s[0:1]
	v_fma_mixlo_f16 v2, v1, v5, 0 op_sel:[0,1,0] op_sel_hi:[0,1,0]
	v_mul_f16_sdwa v2, v9, v2 dst_sel:DWORD dst_unused:UNUSED_PAD src0_sel:WORD_1 src1_sel:DWORD
	v_cvt_f32_f16_e32 v2, v2
	v_add_u32_e32 v4, 14, v21
	global_store_byte v4, v3, s[2:3]
	v_mov_b32_e32 v7, v19
	v_mul_f32_e32 v2, v24, v2
	v_min_f32_e32 v2, 0x43e00000, v2
	v_max_f32_e32 v2, 0xc3e00000, v2
	v_and_b32_sdwa v4, v2, s24 dst_sel:DWORD dst_unused:UNUSED_PAD src0_sel:BYTE_3 src1_sel:DWORD
	v_and_b32_e32 v6, 0x7f800000, v2
	v_and_b32_e32 v18, 0x7fffff, v2
	v_or_b32_e32 v3, 0x7e, v4
	v_cmp_ne_u64_e32 vcc, s[6:7], v[6:7]
	s_and_saveexec_b64 s[0:1], vcc
	s_xor_b64 s[12:13], exec, s[0:1]
	s_cbranch_execz .LBB10_283
; %bb.270:                              ;   in Loop: Header=BB10_29 Depth=1
	v_and_b32_e32 v6, 0x7fffffff, v2
	v_mov_b32_e32 v7, v19
	v_cmp_gt_u64_e32 vcc, s[10:11], v[6:7]
	s_and_saveexec_b64 s[0:1], vcc
	s_xor_b64 s[14:15], exec, s[0:1]
	s_cbranch_execz .LBB10_282
; %bb.271:                              ;   in Loop: Header=BB10_29 Depth=1
	v_cmp_ne_u32_e32 vcc, 0, v2
	v_mov_b32_e32 v3, 0
	s_and_saveexec_b64 s[16:17], vcc
	s_cbranch_execz .LBB10_281
; %bb.272:                              ;   in Loop: Header=BB10_29 Depth=1
	v_bfe_u32 v2, v2, 23, 8
	v_sub_u32_e64 v3, s25, v2 clamp
	v_cmp_eq_u32_e32 vcc, 0, v2
	v_cndmask_b32_e32 v9, v3, v25, vcc
	v_add_u32_e32 v8, 0xffffff88, v2
	v_add_u32_e32 v2, 20, v9
	v_or_b32_e32 v5, 0x800000, v18
	v_lshlrev_b64 v[2:3], v2, -1
	v_cndmask_b32_e32 v18, v5, v18, vcc
	v_not_b32_e32 v3, v3
	v_not_b32_e32 v2, v2
	v_add_u32_e32 v5, 19, v9
	v_and_b32_e32 v3, 0, v3
	v_and_b32_e32 v2, v18, v2
	v_lshlrev_b64 v[6:7], v5, 1
	v_cmp_eq_u64_e64 s[0:1], v[2:3], v[6:7]
	v_lshrrev_b64 v[2:3], v9, v[18:19]
	v_and_b32_e32 v18, 0x100000, v2
	v_cndmask_b32_e32 v5, v8, v26, vcc
	v_cmp_eq_u64_e32 vcc, 0, v[18:19]
	v_lshrrev_b32_e32 v6, 23, v2
	s_and_b64 vcc, vcc, s[0:1]
	v_add3_u32 v6, v5, v9, v6
	v_subbrev_co_u32_e32 v5, vcc, 0, v2, vcc
	v_and_b32_e32 v5, 0xfffff, v5
	v_add_co_u32_e32 v2, vcc, v5, v2
	v_add_u32_e32 v7, -1, v6
	v_addc_co_u32_e32 v3, vcc, 0, v3, vcc
	v_cmp_ne_u32_e32 vcc, 0, v7
                                        ; implicit-def: $vgpr5
	s_and_saveexec_b64 s[0:1], vcc
	s_xor_b64 s[0:1], exec, s[0:1]
; %bb.273:                              ;   in Loop: Header=BB10_29 Depth=1
	v_and_b32_e32 v18, 0x1000000, v2
	v_cmp_eq_u64_e32 vcc, 0, v[18:19]
	v_cndmask_b32_e32 v5, v6, v7, vcc
	v_bfe_u32 v6, v2, 24, 1
	v_lshrrev_b64 v[2:3], v6, v[2:3]
; %bb.274:                              ;   in Loop: Header=BB10_29 Depth=1
	s_andn2_saveexec_b64 s[0:1], s[0:1]
; %bb.275:                              ;   in Loop: Header=BB10_29 Depth=1
	v_bfe_u32 v5, v2, 23, 1
; %bb.276:                              ;   in Loop: Header=BB10_29 Depth=1
	s_or_b64 exec, exec, s[0:1]
	v_lshrrev_b64 v[2:3], 20, v[2:3]
	v_cmp_gt_i32_e32 vcc, 16, v5
	v_cndmask_b32_e32 v3, 0, v3, vcc
	v_cndmask_b32_e32 v2, 7, v2, vcc
	v_cmp_ne_u32_e32 vcc, 0, v5
	v_cmp_ne_u64_e64 s[0:1], 0, v[2:3]
	s_or_b64 s[0:1], vcc, s[0:1]
                                        ; implicit-def: $vgpr3
	s_and_saveexec_b64 s[28:29], s[0:1]
	s_xor_b64 s[0:1], exec, s[28:29]
; %bb.277:                              ;   in Loop: Header=BB10_29 Depth=1
	v_min_i32_e32 v3, 15, v5
	v_lshl_or_b32 v3, v3, 3, v4
	v_and_or_b32 v3, v2, 7, v3
                                        ; implicit-def: $vgpr4
; %bb.278:                              ;   in Loop: Header=BB10_29 Depth=1
	s_andn2_saveexec_b64 s[0:1], s[0:1]
; %bb.279:                              ;   in Loop: Header=BB10_29 Depth=1
	v_mov_b32_e32 v3, v4
; %bb.280:                              ;   in Loop: Header=BB10_29 Depth=1
	s_or_b64 exec, exec, s[0:1]
.LBB10_281:                             ;   in Loop: Header=BB10_29 Depth=1
	s_or_b64 exec, exec, s[16:17]
.LBB10_282:                             ;   in Loop: Header=BB10_29 Depth=1
	s_andn2_saveexec_b64 s[0:1], s[14:15]
	s_or_b64 exec, exec, s[0:1]
                                        ; implicit-def: $vgpr2
.LBB10_283:                             ;   in Loop: Header=BB10_29 Depth=1
	s_andn2_saveexec_b64 s[0:1], s[12:13]
	s_cbranch_execz .LBB10_28
; %bb.284:                              ;   in Loop: Header=BB10_29 Depth=1
	v_or_b32_sdwa v2, v2, s26 dst_sel:DWORD dst_unused:UNUSED_PAD src0_sel:BYTE_3 src1_sel:DWORD
	v_cmp_eq_u64_e32 vcc, 0, v[18:19]
	v_cndmask_b32_e32 v3, v2, v3, vcc
	s_branch .LBB10_28
.LBB10_285:
	s_endpgm
	.section	.rodata,"a",@progbits
	.p2align	6, 0x0
	.amdhsa_kernel _ZN4vllm32rms_norm_static_fp8_quant_kernelIN3c104HalfENS1_13Float8_e4m3fnELi16EEEvPT0_PKT_iS8_PKffii
		.amdhsa_group_segment_fixed_size 68
		.amdhsa_private_segment_fixed_size 0
		.amdhsa_kernarg_size 312
		.amdhsa_user_sgpr_count 6
		.amdhsa_user_sgpr_private_segment_buffer 1
		.amdhsa_user_sgpr_dispatch_ptr 0
		.amdhsa_user_sgpr_queue_ptr 0
		.amdhsa_user_sgpr_kernarg_segment_ptr 1
		.amdhsa_user_sgpr_dispatch_id 0
		.amdhsa_user_sgpr_flat_scratch_init 0
		.amdhsa_user_sgpr_kernarg_preload_length 0
		.amdhsa_user_sgpr_kernarg_preload_offset 0
		.amdhsa_user_sgpr_private_segment_size 0
		.amdhsa_uses_dynamic_stack 0
		.amdhsa_system_sgpr_private_segment_wavefront_offset 0
		.amdhsa_system_sgpr_workgroup_id_x 1
		.amdhsa_system_sgpr_workgroup_id_y 0
		.amdhsa_system_sgpr_workgroup_id_z 0
		.amdhsa_system_sgpr_workgroup_info 0
		.amdhsa_system_vgpr_workitem_id 0
		.amdhsa_next_free_vgpr 32
		.amdhsa_next_free_sgpr 30
		.amdhsa_accum_offset 32
		.amdhsa_reserve_vcc 1
		.amdhsa_reserve_flat_scratch 0
		.amdhsa_float_round_mode_32 0
		.amdhsa_float_round_mode_16_64 0
		.amdhsa_float_denorm_mode_32 3
		.amdhsa_float_denorm_mode_16_64 3
		.amdhsa_dx10_clamp 1
		.amdhsa_ieee_mode 1
		.amdhsa_fp16_overflow 0
		.amdhsa_tg_split 0
		.amdhsa_exception_fp_ieee_invalid_op 0
		.amdhsa_exception_fp_denorm_src 0
		.amdhsa_exception_fp_ieee_div_zero 0
		.amdhsa_exception_fp_ieee_overflow 0
		.amdhsa_exception_fp_ieee_underflow 0
		.amdhsa_exception_fp_ieee_inexact 0
		.amdhsa_exception_int_div_zero 0
	.end_amdhsa_kernel
	.section	.text._ZN4vllm32rms_norm_static_fp8_quant_kernelIN3c104HalfENS1_13Float8_e4m3fnELi16EEEvPT0_PKT_iS8_PKffii,"axG",@progbits,_ZN4vllm32rms_norm_static_fp8_quant_kernelIN3c104HalfENS1_13Float8_e4m3fnELi16EEEvPT0_PKT_iS8_PKffii,comdat
.Lfunc_end10:
	.size	_ZN4vllm32rms_norm_static_fp8_quant_kernelIN3c104HalfENS1_13Float8_e4m3fnELi16EEEvPT0_PKT_iS8_PKffii, .Lfunc_end10-_ZN4vllm32rms_norm_static_fp8_quant_kernelIN3c104HalfENS1_13Float8_e4m3fnELi16EEEvPT0_PKT_iS8_PKffii
                                        ; -- End function
	.section	.AMDGPU.csdata,"",@progbits
; Kernel info:
; codeLenInByte = 9676
; NumSgprs: 34
; NumVgprs: 32
; NumAgprs: 0
; TotalNumVgprs: 32
; ScratchSize: 0
; MemoryBound: 0
; FloatMode: 240
; IeeeMode: 1
; LDSByteSize: 68 bytes/workgroup (compile time only)
; SGPRBlocks: 4
; VGPRBlocks: 3
; NumSGPRsForWavesPerEU: 34
; NumVGPRsForWavesPerEU: 32
; AccumOffset: 32
; Occupancy: 8
; WaveLimiterHint : 0
; COMPUTE_PGM_RSRC2:SCRATCH_EN: 0
; COMPUTE_PGM_RSRC2:USER_SGPR: 6
; COMPUTE_PGM_RSRC2:TRAP_HANDLER: 0
; COMPUTE_PGM_RSRC2:TGID_X_EN: 1
; COMPUTE_PGM_RSRC2:TGID_Y_EN: 0
; COMPUTE_PGM_RSRC2:TGID_Z_EN: 0
; COMPUTE_PGM_RSRC2:TIDIG_COMP_CNT: 0
; COMPUTE_PGM_RSRC3_GFX90A:ACCUM_OFFSET: 7
; COMPUTE_PGM_RSRC3_GFX90A:TG_SPLIT: 0
	.section	.text._ZN4vllm32rms_norm_static_fp8_quant_kernelIN3c104HalfENS1_13Float8_e4m3fnELi8EEEvPT0_PKT_iS8_PKffii,"axG",@progbits,_ZN4vllm32rms_norm_static_fp8_quant_kernelIN3c104HalfENS1_13Float8_e4m3fnELi8EEEvPT0_PKT_iS8_PKffii,comdat
	.protected	_ZN4vllm32rms_norm_static_fp8_quant_kernelIN3c104HalfENS1_13Float8_e4m3fnELi8EEEvPT0_PKT_iS8_PKffii ; -- Begin function _ZN4vllm32rms_norm_static_fp8_quant_kernelIN3c104HalfENS1_13Float8_e4m3fnELi8EEEvPT0_PKT_iS8_PKffii
	.globl	_ZN4vllm32rms_norm_static_fp8_quant_kernelIN3c104HalfENS1_13Float8_e4m3fnELi8EEEvPT0_PKT_iS8_PKffii
	.p2align	8
	.type	_ZN4vllm32rms_norm_static_fp8_quant_kernelIN3c104HalfENS1_13Float8_e4m3fnELi8EEEvPT0_PKT_iS8_PKffii,@function
_ZN4vllm32rms_norm_static_fp8_quant_kernelIN3c104HalfENS1_13Float8_e4m3fnELi8EEEvPT0_PKT_iS8_PKffii: ; @_ZN4vllm32rms_norm_static_fp8_quant_kernelIN3c104HalfENS1_13Float8_e4m3fnELi8EEEvPT0_PKT_iS8_PKffii
; %bb.0:
	s_load_dword s2, s[4:5], 0x10
	s_load_dwordx2 s[0:1], s[4:5], 0x8
	s_load_dword s7, s[4:5], 0x30
	s_load_dword s10, s[4:5], 0x44
	s_mov_b32 s9, 0
	s_waitcnt lgkmcnt(0)
	s_mul_i32 s8, s6, s2
	s_lshl_b64 s[2:3], s[8:9], 1
	s_add_u32 s18, s0, s2
	s_addc_u32 s19, s1, s3
	s_and_b32 s20, s10, 0xffff
	s_and_b32 s8, s18, 15
	s_cmp_lg_u64 s[8:9], 0
	s_cselect_b64 s[8:9], -1, 0
	s_and_b32 s10, s7, 7
	s_cmp_lg_u32 s10, 0
	s_cselect_b64 s[10:11], -1, 0
	s_or_b64 s[8:9], s[8:9], s[10:11]
	s_and_b64 vcc, exec, s[8:9]
	s_cbranch_vccz .LBB11_14
; %bb.1:
	s_sub_i32 s8, 0, s18
	s_bfe_u32 s8, s8, 0x30001
	s_min_i32 s8, s8, s7
	v_cmp_gt_i32_e32 vcc, s8, v0
	v_mov_b32_e32 v1, 0
	s_and_saveexec_b64 s[10:11], vcc
	s_cbranch_execz .LBB11_5
; %bb.2:
	s_add_u32 s9, s0, s2
	v_lshlrev_b32_e32 v1, 1, v0
	s_addc_u32 s12, s1, s3
	s_mov_b32 s14, 0
	v_mov_b32_e32 v3, s12
	v_add_co_u32_e32 v2, vcc, s9, v1
	v_addc_co_u32_e32 v3, vcc, 0, v3, vcc
	s_lshl_b32 s9, s20, 1
	s_mov_b64 s[12:13], 0
	v_mov_b32_e32 v1, 0
	v_mov_b32_e32 v4, s14
	;; [unrolled: 1-line block ×3, first 2 shown]
.LBB11_3:                               ; =>This Inner Loop Header: Depth=1
	global_load_ushort v6, v[2:3], off
	v_add_co_u32_e32 v2, vcc, s9, v2
	v_add_u32_e32 v5, s20, v5
	v_addc_co_u32_e32 v3, vcc, v3, v4, vcc
	v_cmp_le_i32_e32 vcc, s8, v5
	s_or_b64 s[12:13], vcc, s[12:13]
	s_waitcnt vmcnt(0)
	v_fma_mix_f32 v1, v6, v6, v1 op_sel_hi:[1,1,0]
	s_andn2_b64 exec, exec, s[12:13]
	s_cbranch_execnz .LBB11_3
; %bb.4:
	s_or_b64 exec, exec, s[12:13]
.LBB11_5:
	s_or_b64 exec, exec, s[10:11]
	s_sub_i32 s14, s7, s8
	s_ashr_i32 s10, s14, 31
	s_lshr_b32 s10, s10, 29
	s_add_i32 s10, s14, s10
	s_ashr_i32 s15, s10, 3
	s_ashr_i32 s9, s8, 31
	v_cmp_gt_i32_e32 vcc, s15, v0
	s_and_saveexec_b64 s[10:11], vcc
	s_cbranch_execz .LBB11_9
; %bb.6:
	s_lshl_b64 s[12:13], s[8:9], 1
	s_add_u32 s16, s0, s2
	s_addc_u32 s21, s1, s3
	s_add_u32 s12, s16, s12
	v_lshlrev_b32_e32 v2, 4, v0
	s_addc_u32 s13, s21, s13
	s_mov_b32 s17, 0
	v_mov_b32_e32 v3, s13
	v_add_co_u32_e32 v2, vcc, s12, v2
	v_addc_co_u32_e32 v3, vcc, 0, v3, vcc
	s_lshl_b32 s16, s20, 4
	s_mov_b64 s[12:13], 0
	v_mov_b32_e32 v4, s17
	v_mov_b32_e32 v5, v0
.LBB11_7:                               ; =>This Inner Loop Header: Depth=1
	global_load_dwordx4 v[6:9], v[2:3], off
	v_add_co_u32_e32 v2, vcc, s16, v2
	v_add_u32_e32 v5, s20, v5
	v_addc_co_u32_e32 v3, vcc, v3, v4, vcc
	v_cmp_le_i32_e32 vcc, s15, v5
	s_or_b64 s[12:13], vcc, s[12:13]
	s_waitcnt vmcnt(0)
	v_fma_mix_f32 v1, v6, v6, v1 op_sel_hi:[1,1,0]
	v_fma_mix_f32 v1, v6, v6, v1 op_sel:[1,1,0] op_sel_hi:[1,1,0]
	v_fma_mix_f32 v1, v7, v7, v1 op_sel_hi:[1,1,0]
	v_fma_mix_f32 v1, v7, v7, v1 op_sel:[1,1,0] op_sel_hi:[1,1,0]
	;; [unrolled: 2-line block ×4, first 2 shown]
	s_andn2_b64 exec, exec, s[12:13]
	s_cbranch_execnz .LBB11_7
; %bb.8:
	s_or_b64 exec, exec, s[12:13]
.LBB11_9:
	s_or_b64 exec, exec, s[10:11]
	v_lshl_add_u32 v2, s15, 3, v0
	v_cmp_gt_i32_e32 vcc, s14, v2
	s_and_saveexec_b64 s[10:11], vcc
	s_cbranch_execz .LBB11_13
; %bb.10:
	s_lshl_b64 s[8:9], s[8:9], 1
	s_add_u32 s12, s0, s2
	s_addc_u32 s13, s1, s3
	v_ashrrev_i32_e32 v3, 31, v2
	s_add_u32 s8, s12, s8
	v_lshlrev_b64 v[4:5], 1, v[2:3]
	s_addc_u32 s9, s13, s9
	v_mov_b32_e32 v3, s9
	v_add_co_u32_e32 v4, vcc, s8, v4
	s_mov_b32 s13, 0
	v_addc_co_u32_e32 v5, vcc, v3, v5, vcc
	s_lshl_b32 s12, s20, 1
	s_mov_b64 s[8:9], 0
	v_mov_b32_e32 v3, s13
.LBB11_11:                              ; =>This Inner Loop Header: Depth=1
	global_load_ushort v6, v[4:5], off
	v_add_co_u32_e32 v4, vcc, s12, v4
	v_add_u32_e32 v2, s20, v2
	v_addc_co_u32_e32 v5, vcc, v5, v3, vcc
	v_cmp_le_i32_e32 vcc, s14, v2
	s_or_b64 s[8:9], vcc, s[8:9]
	s_waitcnt vmcnt(0)
	v_fma_mix_f32 v1, v6, v6, v1 op_sel_hi:[1,1,0]
	s_andn2_b64 exec, exec, s[8:9]
	s_cbranch_execnz .LBB11_11
; %bb.12:
	s_or_b64 exec, exec, s[8:9]
.LBB11_13:
	s_or_b64 exec, exec, s[10:11]
	s_branch .LBB11_20
.LBB11_14:
                                        ; implicit-def: $vgpr1
	s_cbranch_execz .LBB11_20
; %bb.15:
	s_ashr_i32 s10, s7, 3
	v_cmp_gt_i32_e32 vcc, s10, v0
	v_mov_b32_e32 v1, 0
	s_and_saveexec_b64 s[8:9], vcc
	s_cbranch_execz .LBB11_19
; %bb.16:
	s_add_u32 s0, s0, s2
	v_lshlrev_b32_e32 v1, 4, v0
	s_addc_u32 s1, s1, s3
	s_mov_b32 s11, 0
	v_mov_b32_e32 v3, s1
	v_add_co_u32_e32 v2, vcc, s0, v1
	v_addc_co_u32_e32 v3, vcc, 0, v3, vcc
	s_lshl_b32 s2, s20, 4
	s_mov_b64 s[0:1], 0
	v_mov_b32_e32 v1, 0
	v_mov_b32_e32 v4, s11
	;; [unrolled: 1-line block ×3, first 2 shown]
.LBB11_17:                              ; =>This Inner Loop Header: Depth=1
	global_load_dwordx4 v[6:9], v[2:3], off
	v_add_co_u32_e32 v2, vcc, s2, v2
	v_add_u32_e32 v5, s20, v5
	v_addc_co_u32_e32 v3, vcc, v3, v4, vcc
	v_cmp_le_i32_e32 vcc, s10, v5
	s_or_b64 s[0:1], vcc, s[0:1]
	s_waitcnt vmcnt(0)
	v_fma_mix_f32 v1, v6, v6, v1 op_sel_hi:[1,1,0]
	v_fma_mix_f32 v1, v6, v6, v1 op_sel:[1,1,0] op_sel_hi:[1,1,0]
	v_fma_mix_f32 v1, v7, v7, v1 op_sel_hi:[1,1,0]
	v_fma_mix_f32 v1, v7, v7, v1 op_sel:[1,1,0] op_sel_hi:[1,1,0]
	;; [unrolled: 2-line block ×4, first 2 shown]
	s_andn2_b64 exec, exec, s[0:1]
	s_cbranch_execnz .LBB11_17
; %bb.18:
	s_or_b64 exec, exec, s[0:1]
.LBB11_19:
	s_or_b64 exec, exec, s[8:9]
.LBB11_20:
	v_mbcnt_lo_u32_b32 v2, -1, 0
	v_mbcnt_hi_u32_b32 v2, -1, v2
	v_and_b32_e32 v3, 63, v2
	v_cmp_ne_u32_e32 vcc, 63, v3
	v_addc_co_u32_e32 v4, vcc, 0, v2, vcc
	v_lshlrev_b32_e32 v4, 2, v4
	ds_bpermute_b32 v4, v4, v1
	v_and_b32_e32 v5, 0x3c0, v0
	v_sub_u32_e64 v5, s20, v5 clamp
	v_add_u32_e32 v6, 1, v2
	v_cmp_lt_u32_e32 vcc, v6, v5
	s_waitcnt lgkmcnt(0)
	v_add_f32_e32 v4, v1, v4
	v_cndmask_b32_e32 v1, v1, v4, vcc
	v_cmp_gt_u32_e32 vcc, 62, v3
	v_cndmask_b32_e64 v4, 0, 1, vcc
	v_lshlrev_b32_e32 v4, 1, v4
	v_add_lshl_u32 v4, v4, v2, 2
	ds_bpermute_b32 v4, v4, v1
	v_add_u32_e32 v6, 2, v2
	v_cmp_lt_u32_e32 vcc, v6, v5
	v_add_u32_e32 v6, 4, v2
	s_waitcnt lgkmcnt(0)
	v_add_f32_e32 v4, v1, v4
	v_cndmask_b32_e32 v1, v1, v4, vcc
	v_cmp_gt_u32_e32 vcc, 60, v3
	v_cndmask_b32_e64 v4, 0, 1, vcc
	v_lshlrev_b32_e32 v4, 2, v4
	v_add_lshl_u32 v4, v4, v2, 2
	ds_bpermute_b32 v4, v4, v1
	v_cmp_lt_u32_e32 vcc, v6, v5
	v_add_u32_e32 v6, 8, v2
	s_waitcnt lgkmcnt(0)
	v_add_f32_e32 v4, v1, v4
	v_cndmask_b32_e32 v1, v1, v4, vcc
	v_cmp_gt_u32_e32 vcc, 56, v3
	v_cndmask_b32_e64 v4, 0, 1, vcc
	v_lshlrev_b32_e32 v4, 3, v4
	v_add_lshl_u32 v4, v4, v2, 2
	ds_bpermute_b32 v4, v4, v1
	;; [unrolled: 10-line block ×3, first 2 shown]
	v_cmp_lt_u32_e32 vcc, v6, v5
	s_waitcnt lgkmcnt(0)
	v_add_f32_e32 v4, v1, v4
	v_cndmask_b32_e32 v1, v1, v4, vcc
	v_cmp_gt_u32_e32 vcc, 32, v3
	v_cndmask_b32_e64 v3, 0, 1, vcc
	v_lshlrev_b32_e32 v3, 5, v3
	v_add_lshl_u32 v3, v3, v2, 2
	ds_bpermute_b32 v3, v3, v1
	v_add_u32_e32 v4, 32, v2
	v_cmp_lt_u32_e32 vcc, v4, v5
	s_waitcnt lgkmcnt(0)
	v_add_f32_e32 v3, v1, v3
	v_cndmask_b32_e32 v1, v1, v3, vcc
	v_cmp_eq_u32_e32 vcc, 0, v2
	s_and_saveexec_b64 s[0:1], vcc
	s_cbranch_execz .LBB11_22
; %bb.21:
	v_lshrrev_b32_e32 v3, 4, v0
	v_and_b32_e32 v3, 60, v3
	ds_write_b32 v3, v1
.LBB11_22:
	s_or_b64 exec, exec, s[0:1]
	v_cmp_gt_u32_e32 vcc, 16, v0
	s_waitcnt lgkmcnt(0)
	s_barrier
	s_and_saveexec_b64 s[2:3], vcc
	s_cbranch_execz .LBB11_24
; %bb.23:
	v_lshlrev_b32_e32 v1, 2, v2
	ds_read_b32 v1, v1
	v_and_b32_e32 v3, 15, v2
	v_cmp_ne_u32_e32 vcc, 15, v3
	v_addc_co_u32_e32 v4, vcc, 0, v2, vcc
	v_lshlrev_b32_e32 v4, 2, v4
	s_waitcnt lgkmcnt(0)
	ds_bpermute_b32 v4, v4, v1
	s_add_i32 s0, s20, 63
	s_lshr_b32 s8, s0, 6
	v_add_u32_e32 v5, 1, v3
	v_cmp_gt_u32_e64 s[0:1], 14, v3
	v_cmp_gt_u32_e32 vcc, s8, v5
	v_cndmask_b32_e64 v5, 0, 1, s[0:1]
	s_waitcnt lgkmcnt(0)
	v_add_f32_e32 v4, v1, v4
	v_lshlrev_b32_e32 v5, 1, v5
	v_cndmask_b32_e32 v4, v1, v4, vcc
	v_add_lshl_u32 v5, v5, v2, 2
	ds_bpermute_b32 v5, v5, v4
	v_add_u32_e32 v6, 2, v3
	v_cmp_gt_u32_e64 s[0:1], s8, v6
	v_add_u32_e32 v6, 4, v3
	s_waitcnt lgkmcnt(0)
	v_add_f32_e32 v5, v4, v5
	v_cndmask_b32_e64 v4, v4, v5, s[0:1]
	v_cmp_gt_u32_e64 s[0:1], 12, v3
	v_cndmask_b32_e64 v5, 0, 1, s[0:1]
	v_lshlrev_b32_e32 v5, 2, v5
	v_add_lshl_u32 v5, v5, v2, 2
	ds_bpermute_b32 v5, v5, v4
	v_cmp_gt_u32_e64 s[0:1], s8, v6
	s_waitcnt lgkmcnt(0)
	v_add_f32_e32 v5, v4, v5
	v_cndmask_b32_e64 v4, v4, v5, s[0:1]
	v_cmp_gt_u32_e64 s[0:1], 8, v3
	v_cndmask_b32_e64 v5, 0, 1, s[0:1]
	v_lshlrev_b32_e32 v5, 3, v5
	v_add_lshl_u32 v2, v5, v2, 2
	ds_bpermute_b32 v2, v2, v4
	v_add_u32_e32 v3, 8, v3
	v_cmp_gt_u32_e64 s[0:1], s8, v3
	s_waitcnt lgkmcnt(0)
	v_add_f32_e32 v2, v4, v2
	v_cndmask_b32_e64 v2, v4, v2, s[0:1]
	v_cndmask_b32_e32 v1, v1, v2, vcc
.LBB11_24:
	s_or_b64 exec, exec, s[2:3]
	v_cmp_eq_u32_e32 vcc, 0, v0
	s_and_saveexec_b64 s[0:1], vcc
	s_cbranch_execz .LBB11_26
; %bb.25:
	v_cvt_f32_i32_e32 v2, s7
	s_load_dword s8, s[4:5], 0x28
	v_div_scale_f32 v3, s[2:3], v2, v2, v1
	v_rcp_f32_e32 v4, v3
	v_div_scale_f32 v5, vcc, v1, v2, v1
	s_mov_b32 s2, 0x800000
	v_fma_f32 v6, -v3, v4, 1.0
	v_fmac_f32_e32 v4, v6, v4
	v_mul_f32_e32 v6, v5, v4
	v_fma_f32 v7, -v3, v6, v5
	v_fmac_f32_e32 v6, v7, v4
	v_fma_f32 v3, -v3, v6, v5
	v_div_fmas_f32 v3, v3, v4, v6
	v_div_fixup_f32 v1, v3, v2, v1
	s_waitcnt lgkmcnt(0)
	v_add_f32_e32 v1, s8, v1
	v_mul_f32_e32 v2, 0x4b800000, v1
	v_cmp_gt_f32_e32 vcc, s2, v1
	v_cndmask_b32_e32 v1, v1, v2, vcc
	v_rsq_f32_e32 v1, v1
	v_mul_f32_e32 v2, 0x45800000, v1
	v_cndmask_b32_e32 v1, v1, v2, vcc
	v_mov_b32_e32 v2, 0
	ds_write_b32 v2, v1 offset:64
.LBB11_26:
	s_or_b64 exec, exec, s[0:1]
	s_ashr_i32 s0, s7, 31
	s_lshr_b32 s0, s0, 29
	s_add_i32 s0, s7, s0
	s_ashr_i32 s21, s0, 3
	v_cmp_gt_i32_e32 vcc, s21, v0
	s_waitcnt lgkmcnt(0)
	s_barrier
	s_and_saveexec_b64 s[0:1], vcc
	s_cbranch_execz .LBB11_157
; %bb.27:
	s_load_dwordx4 s[8:11], s[4:5], 0x18
	s_load_dwordx2 s[2:3], s[4:5], 0x0
	v_mov_b32_e32 v11, 0
	ds_read_b32 v1, v11 offset:64
	s_mul_i32 s6, s6, s7
	s_waitcnt lgkmcnt(0)
	s_load_dword s4, s[10:11], 0x0
	s_lshl_b32 s22, s20, 3
	v_lshlrev_b32_e32 v12, 4, v0
	v_lshl_add_u32 v13, v0, 3, s6
	s_lshl_b32 s23, s20, 4
	s_waitcnt lgkmcnt(0)
	v_div_scale_f32 v2, s[0:1], s4, s4, 1.0
	v_rcp_f32_e32 v3, v2
	v_div_scale_f32 v4, vcc, 1.0, s4, 1.0
	s_movk_i32 s24, 0x80
	v_fma_f32 v5, -v2, v3, 1.0
	v_fmac_f32_e32 v3, v5, v3
	v_mul_f32_e32 v5, v4, v3
	v_fma_f32 v6, -v2, v5, v4
	v_fmac_f32_e32 v5, v6, v3
	v_fma_f32 v2, -v2, v5, v4
	v_div_fmas_f32 v2, v2, v3, v5
	v_div_fixup_f32 v16, v2, s4, 1.0
	s_mov_b64 s[4:5], 0
	s_mov_b64 s[6:7], 0x7f800000
	;; [unrolled: 1-line block ×3, first 2 shown]
	s_movk_i32 s25, 0x79
	s_movk_i32 s26, 0x7f
	v_mov_b32_e32 v17, 0x78
	v_mov_b32_e32 v18, 0xffffff89
	s_branch .LBB11_29
.LBB11_28:                              ;   in Loop: Header=BB11_29 Depth=1
	s_or_b64 exec, exec, s[0:1]
	s_add_u32 s8, s8, s23
	s_addc_u32 s9, s9, 0
	v_add_u32_e32 v0, s20, v0
	s_add_u32 s18, s18, s23
	s_addc_u32 s19, s19, 0
	v_cmp_le_i32_e32 vcc, s21, v0
	v_add_u32_e32 v2, 7, v13
	s_or_b64 s[4:5], vcc, s[4:5]
	v_add_u32_e32 v13, s22, v13
	global_store_byte v2, v3, s[2:3]
	s_andn2_b64 exec, exec, s[4:5]
	s_cbranch_execz .LBB11_157
.LBB11_29:                              ; =>This Inner Loop Header: Depth=1
	v_mov_b32_e32 v3, s19
	v_add_co_u32_e32 v2, vcc, s18, v12
	v_addc_co_u32_e32 v3, vcc, 0, v3, vcc
	v_mov_b32_e32 v7, s9
	v_add_co_u32_e32 v6, vcc, s8, v12
	global_load_dwordx4 v[2:5], v[2:3], off
	v_addc_co_u32_e32 v7, vcc, 0, v7, vcc
	global_load_dwordx4 v[6:9], v[6:7], off
	v_mov_b32_e32 v21, v11
	s_waitcnt vmcnt(1)
	v_fma_mixlo_f16 v10, v1, v2, 0 op_sel_hi:[0,1,0]
	s_waitcnt vmcnt(0)
	v_mul_f16_e32 v10, v6, v10
	v_cvt_f32_f16_e32 v10, v10
	v_mul_f32_e32 v10, v16, v10
	v_min_f32_e32 v10, 0x43e00000, v10
	v_max_f32_e32 v14, 0xc3e00000, v10
	v_and_b32_sdwa v19, v14, s24 dst_sel:DWORD dst_unused:UNUSED_PAD src0_sel:BYTE_3 src1_sel:DWORD
	v_and_b32_e32 v20, 0x7f800000, v14
	v_and_b32_e32 v10, 0x7fffff, v14
	v_or_b32_e32 v15, 0x7e, v19
	v_cmp_ne_u64_e32 vcc, s[6:7], v[20:21]
	s_and_saveexec_b64 s[0:1], vcc
	s_xor_b64 s[12:13], exec, s[0:1]
	s_cbranch_execz .LBB11_43
; %bb.30:                               ;   in Loop: Header=BB11_29 Depth=1
	v_and_b32_e32 v20, 0x7fffffff, v14
	v_mov_b32_e32 v21, v11
	v_cmp_gt_u64_e32 vcc, s[10:11], v[20:21]
	s_and_saveexec_b64 s[0:1], vcc
	s_xor_b64 s[14:15], exec, s[0:1]
	s_cbranch_execz .LBB11_42
; %bb.31:                               ;   in Loop: Header=BB11_29 Depth=1
	v_cmp_ne_u32_e32 vcc, 0, v14
	v_mov_b32_e32 v15, 0
	s_and_saveexec_b64 s[16:17], vcc
	s_cbranch_execz .LBB11_41
; %bb.32:                               ;   in Loop: Header=BB11_29 Depth=1
	v_bfe_u32 v14, v14, 23, 8
	v_sub_u32_e64 v15, s25, v14 clamp
	v_cmp_eq_u32_e32 vcc, 0, v14
	v_cndmask_b32_e32 v23, v15, v17, vcc
	v_add_u32_e32 v22, 0xffffff88, v14
	v_add_u32_e32 v14, 20, v23
	v_or_b32_e32 v20, 0x800000, v10
	v_lshlrev_b64 v[14:15], v14, -1
	v_cndmask_b32_e32 v10, v20, v10, vcc
	v_not_b32_e32 v15, v15
	v_not_b32_e32 v14, v14
	v_add_u32_e32 v20, 19, v23
	v_and_b32_e32 v15, 0, v15
	v_and_b32_e32 v14, v10, v14
	v_lshlrev_b64 v[20:21], v20, 1
	v_cmp_eq_u64_e64 s[0:1], v[14:15], v[20:21]
	s_waitcnt vmcnt(0) expcnt(0) lgkmcnt(0)
	v_swap_b32 v0, v23
	v_lshrrev_b64 v[14:15], v0, v[10:11]
	v_swap_b32 v23, v0
	v_cndmask_b32_e32 v10, v22, v18, vcc
	v_lshrrev_b32_e32 v20, 23, v14
	v_add3_u32 v20, v10, v23, v20
	v_and_b32_e32 v10, 0x100000, v14
	v_cmp_eq_u64_e32 vcc, 0, v[10:11]
	s_and_b64 vcc, vcc, s[0:1]
	v_subbrev_co_u32_e32 v10, vcc, 0, v14, vcc
	v_and_b32_e32 v10, 0xfffff, v10
	v_add_co_u32_e32 v14, vcc, v10, v14
	v_add_u32_e32 v21, -1, v20
	v_addc_co_u32_e32 v15, vcc, 0, v15, vcc
	v_cmp_ne_u32_e32 vcc, 0, v21
                                        ; implicit-def: $vgpr10
	s_and_saveexec_b64 s[0:1], vcc
	s_xor_b64 s[0:1], exec, s[0:1]
; %bb.33:                               ;   in Loop: Header=BB11_29 Depth=1
	v_and_b32_e32 v10, 0x1000000, v14
	v_cmp_eq_u64_e32 vcc, 0, v[10:11]
	v_cndmask_b32_e32 v10, v20, v21, vcc
	v_bfe_u32 v20, v14, 24, 1
	v_lshrrev_b64 v[14:15], v20, v[14:15]
; %bb.34:                               ;   in Loop: Header=BB11_29 Depth=1
	s_andn2_saveexec_b64 s[0:1], s[0:1]
; %bb.35:                               ;   in Loop: Header=BB11_29 Depth=1
	v_bfe_u32 v10, v14, 23, 1
; %bb.36:                               ;   in Loop: Header=BB11_29 Depth=1
	s_or_b64 exec, exec, s[0:1]
	v_lshrrev_b64 v[14:15], 20, v[14:15]
	v_cmp_gt_i32_e32 vcc, 16, v10
	v_cndmask_b32_e32 v15, 0, v15, vcc
	v_cndmask_b32_e32 v14, 7, v14, vcc
	v_cmp_ne_u32_e32 vcc, 0, v10
	v_cmp_ne_u64_e64 s[0:1], 0, v[14:15]
	s_or_b64 s[0:1], vcc, s[0:1]
                                        ; implicit-def: $vgpr15
	s_and_saveexec_b64 s[28:29], s[0:1]
	s_xor_b64 s[0:1], exec, s[28:29]
; %bb.37:                               ;   in Loop: Header=BB11_29 Depth=1
	v_min_i32_e32 v10, 15, v10
	v_lshl_or_b32 v10, v10, 3, v19
	v_and_or_b32 v15, v14, 7, v10
                                        ; implicit-def: $vgpr19
; %bb.38:                               ;   in Loop: Header=BB11_29 Depth=1
	s_andn2_saveexec_b64 s[0:1], s[0:1]
; %bb.39:                               ;   in Loop: Header=BB11_29 Depth=1
	v_mov_b32_e32 v15, v19
; %bb.40:                               ;   in Loop: Header=BB11_29 Depth=1
	s_or_b64 exec, exec, s[0:1]
.LBB11_41:                              ;   in Loop: Header=BB11_29 Depth=1
	s_or_b64 exec, exec, s[16:17]
.LBB11_42:                              ;   in Loop: Header=BB11_29 Depth=1
	s_andn2_saveexec_b64 s[0:1], s[14:15]
	s_or_b64 exec, exec, s[0:1]
                                        ; implicit-def: $vgpr14
.LBB11_43:                              ;   in Loop: Header=BB11_29 Depth=1
	s_andn2_saveexec_b64 s[0:1], s[12:13]
; %bb.44:                               ;   in Loop: Header=BB11_29 Depth=1
	v_or_b32_sdwa v14, v14, s26 dst_sel:DWORD dst_unused:UNUSED_PAD src0_sel:BYTE_3 src1_sel:DWORD
	v_cmp_eq_u64_e32 vcc, 0, v[10:11]
	v_cndmask_b32_e32 v15, v14, v15, vcc
; %bb.45:                               ;   in Loop: Header=BB11_29 Depth=1
	s_or_b64 exec, exec, s[0:1]
	v_fma_mixlo_f16 v2, v1, v2, 0 op_sel:[0,1,0] op_sel_hi:[0,1,0]
	v_mul_f16_sdwa v2, v6, v2 dst_sel:DWORD dst_unused:UNUSED_PAD src0_sel:WORD_1 src1_sel:DWORD
	v_cvt_f32_f16_e32 v2, v2
	v_mov_b32_e32 v21, v11
	global_store_byte v13, v15, s[2:3]
	v_mul_f32_e32 v2, v16, v2
	v_min_f32_e32 v2, 0x43e00000, v2
	v_max_f32_e32 v14, 0xc3e00000, v2
	v_and_b32_sdwa v2, v14, s24 dst_sel:DWORD dst_unused:UNUSED_PAD src0_sel:BYTE_3 src1_sel:DWORD
	v_and_b32_e32 v20, 0x7f800000, v14
	v_and_b32_e32 v10, 0x7fffff, v14
	v_or_b32_e32 v6, 0x7e, v2
	v_cmp_ne_u64_e32 vcc, s[6:7], v[20:21]
	s_and_saveexec_b64 s[0:1], vcc
	s_xor_b64 s[12:13], exec, s[0:1]
	s_cbranch_execz .LBB11_59
; %bb.46:                               ;   in Loop: Header=BB11_29 Depth=1
	v_and_b32_e32 v20, 0x7fffffff, v14
	v_mov_b32_e32 v21, v11
	v_cmp_gt_u64_e32 vcc, s[10:11], v[20:21]
	s_and_saveexec_b64 s[0:1], vcc
	s_xor_b64 s[14:15], exec, s[0:1]
	s_cbranch_execz .LBB11_58
; %bb.47:                               ;   in Loop: Header=BB11_29 Depth=1
	v_cmp_ne_u32_e32 vcc, 0, v14
	v_mov_b32_e32 v6, 0
	s_and_saveexec_b64 s[16:17], vcc
	s_cbranch_execz .LBB11_57
; %bb.48:                               ;   in Loop: Header=BB11_29 Depth=1
	v_bfe_u32 v6, v14, 23, 8
	v_sub_u32_e64 v14, s25, v6 clamp
	v_cmp_eq_u32_e32 vcc, 0, v6
	v_add_u32_e32 v19, 0xffffff88, v6
	v_cndmask_b32_e32 v6, v14, v17, vcc
	v_or_b32_e32 v15, 0x800000, v10
	v_add_u32_e32 v14, 20, v6
	v_cndmask_b32_e32 v10, v15, v10, vcc
	v_lshlrev_b64 v[14:15], v14, -1
	v_not_b32_e32 v15, v15
	v_not_b32_e32 v14, v14
	v_add_u32_e32 v20, 19, v6
	v_and_b32_e32 v15, 0, v15
	v_and_b32_e32 v14, v10, v14
	v_lshlrev_b64 v[20:21], v20, 1
	v_cmp_eq_u64_e64 s[0:1], v[14:15], v[20:21]
	v_lshrrev_b64 v[14:15], v6, v[10:11]
	v_cndmask_b32_e32 v10, v19, v18, vcc
	v_lshrrev_b32_e32 v19, 23, v14
	v_add3_u32 v6, v10, v6, v19
	v_and_b32_e32 v10, 0x100000, v14
	v_cmp_eq_u64_e32 vcc, 0, v[10:11]
	s_and_b64 vcc, vcc, s[0:1]
	v_subbrev_co_u32_e32 v10, vcc, 0, v14, vcc
	v_and_b32_e32 v10, 0xfffff, v10
	v_add_co_u32_e32 v14, vcc, v10, v14
	v_add_u32_e32 v19, -1, v6
	v_addc_co_u32_e32 v15, vcc, 0, v15, vcc
	v_cmp_ne_u32_e32 vcc, 0, v19
                                        ; implicit-def: $vgpr10
	s_and_saveexec_b64 s[0:1], vcc
	s_xor_b64 s[0:1], exec, s[0:1]
; %bb.49:                               ;   in Loop: Header=BB11_29 Depth=1
	v_and_b32_e32 v10, 0x1000000, v14
	v_cmp_eq_u64_e32 vcc, 0, v[10:11]
	v_cndmask_b32_e32 v10, v6, v19, vcc
	v_bfe_u32 v6, v14, 24, 1
	v_lshrrev_b64 v[14:15], v6, v[14:15]
; %bb.50:                               ;   in Loop: Header=BB11_29 Depth=1
	s_andn2_saveexec_b64 s[0:1], s[0:1]
; %bb.51:                               ;   in Loop: Header=BB11_29 Depth=1
	v_bfe_u32 v10, v14, 23, 1
; %bb.52:                               ;   in Loop: Header=BB11_29 Depth=1
	s_or_b64 exec, exec, s[0:1]
	v_lshrrev_b64 v[14:15], 20, v[14:15]
	v_cmp_gt_i32_e32 vcc, 16, v10
	v_cndmask_b32_e32 v15, 0, v15, vcc
	v_cndmask_b32_e32 v14, 7, v14, vcc
	v_cmp_ne_u32_e32 vcc, 0, v10
	v_cmp_ne_u64_e64 s[0:1], 0, v[14:15]
	s_or_b64 s[0:1], vcc, s[0:1]
                                        ; implicit-def: $vgpr6
	s_and_saveexec_b64 s[28:29], s[0:1]
	s_xor_b64 s[0:1], exec, s[28:29]
; %bb.53:                               ;   in Loop: Header=BB11_29 Depth=1
	v_min_i32_e32 v6, 15, v10
	v_lshl_or_b32 v2, v6, 3, v2
	v_and_or_b32 v6, v14, 7, v2
                                        ; implicit-def: $vgpr2
; %bb.54:                               ;   in Loop: Header=BB11_29 Depth=1
	s_andn2_saveexec_b64 s[0:1], s[0:1]
; %bb.55:                               ;   in Loop: Header=BB11_29 Depth=1
	v_mov_b32_e32 v6, v2
; %bb.56:                               ;   in Loop: Header=BB11_29 Depth=1
	s_or_b64 exec, exec, s[0:1]
.LBB11_57:                              ;   in Loop: Header=BB11_29 Depth=1
	s_or_b64 exec, exec, s[16:17]
.LBB11_58:                              ;   in Loop: Header=BB11_29 Depth=1
	s_andn2_saveexec_b64 s[0:1], s[14:15]
	s_or_b64 exec, exec, s[0:1]
                                        ; implicit-def: $vgpr14
.LBB11_59:                              ;   in Loop: Header=BB11_29 Depth=1
	s_andn2_saveexec_b64 s[0:1], s[12:13]
; %bb.60:                               ;   in Loop: Header=BB11_29 Depth=1
	v_or_b32_sdwa v2, v14, s26 dst_sel:DWORD dst_unused:UNUSED_PAD src0_sel:BYTE_3 src1_sel:DWORD
	v_cmp_eq_u64_e32 vcc, 0, v[10:11]
	v_cndmask_b32_e32 v6, v2, v6, vcc
; %bb.61:                               ;   in Loop: Header=BB11_29 Depth=1
	s_or_b64 exec, exec, s[0:1]
	v_fma_mixlo_f16 v2, v1, v3, 0 op_sel_hi:[0,1,0]
	v_mul_f16_e32 v2, v7, v2
	v_cvt_f32_f16_e32 v2, v2
	v_add_u32_e32 v10, 1, v13
	v_mov_b32_e32 v21, v11
	global_store_byte v10, v6, s[2:3]
	v_mul_f32_e32 v2, v16, v2
	v_min_f32_e32 v2, 0x43e00000, v2
	v_max_f32_e32 v14, 0xc3e00000, v2
	v_and_b32_sdwa v2, v14, s24 dst_sel:DWORD dst_unused:UNUSED_PAD src0_sel:BYTE_3 src1_sel:DWORD
	v_and_b32_e32 v20, 0x7f800000, v14
	v_and_b32_e32 v10, 0x7fffff, v14
	v_or_b32_e32 v6, 0x7e, v2
	v_cmp_ne_u64_e32 vcc, s[6:7], v[20:21]
	s_and_saveexec_b64 s[0:1], vcc
	s_xor_b64 s[12:13], exec, s[0:1]
	s_cbranch_execz .LBB11_75
; %bb.62:                               ;   in Loop: Header=BB11_29 Depth=1
	v_and_b32_e32 v20, 0x7fffffff, v14
	v_mov_b32_e32 v21, v11
	v_cmp_gt_u64_e32 vcc, s[10:11], v[20:21]
	s_and_saveexec_b64 s[0:1], vcc
	s_xor_b64 s[14:15], exec, s[0:1]
	s_cbranch_execz .LBB11_74
; %bb.63:                               ;   in Loop: Header=BB11_29 Depth=1
	v_cmp_ne_u32_e32 vcc, 0, v14
	v_mov_b32_e32 v6, 0
	s_and_saveexec_b64 s[16:17], vcc
	s_cbranch_execz .LBB11_73
; %bb.64:                               ;   in Loop: Header=BB11_29 Depth=1
	v_bfe_u32 v6, v14, 23, 8
	v_sub_u32_e64 v14, s25, v6 clamp
	v_cmp_eq_u32_e32 vcc, 0, v6
	v_add_u32_e32 v19, 0xffffff88, v6
	v_cndmask_b32_e32 v6, v14, v17, vcc
	v_or_b32_e32 v15, 0x800000, v10
	v_add_u32_e32 v14, 20, v6
	v_cndmask_b32_e32 v10, v15, v10, vcc
	v_lshlrev_b64 v[14:15], v14, -1
	v_not_b32_e32 v15, v15
	v_not_b32_e32 v14, v14
	v_add_u32_e32 v20, 19, v6
	v_and_b32_e32 v15, 0, v15
	v_and_b32_e32 v14, v10, v14
	v_lshlrev_b64 v[20:21], v20, 1
	v_cmp_eq_u64_e64 s[0:1], v[14:15], v[20:21]
	v_lshrrev_b64 v[14:15], v6, v[10:11]
	v_cndmask_b32_e32 v10, v19, v18, vcc
	v_lshrrev_b32_e32 v19, 23, v14
	v_add3_u32 v6, v10, v6, v19
	v_and_b32_e32 v10, 0x100000, v14
	v_cmp_eq_u64_e32 vcc, 0, v[10:11]
	s_and_b64 vcc, vcc, s[0:1]
	v_subbrev_co_u32_e32 v10, vcc, 0, v14, vcc
	v_and_b32_e32 v10, 0xfffff, v10
	v_add_co_u32_e32 v14, vcc, v10, v14
	v_add_u32_e32 v19, -1, v6
	v_addc_co_u32_e32 v15, vcc, 0, v15, vcc
	v_cmp_ne_u32_e32 vcc, 0, v19
                                        ; implicit-def: $vgpr10
	s_and_saveexec_b64 s[0:1], vcc
	s_xor_b64 s[0:1], exec, s[0:1]
; %bb.65:                               ;   in Loop: Header=BB11_29 Depth=1
	v_and_b32_e32 v10, 0x1000000, v14
	v_cmp_eq_u64_e32 vcc, 0, v[10:11]
	v_cndmask_b32_e32 v10, v6, v19, vcc
	v_bfe_u32 v6, v14, 24, 1
	v_lshrrev_b64 v[14:15], v6, v[14:15]
; %bb.66:                               ;   in Loop: Header=BB11_29 Depth=1
	s_andn2_saveexec_b64 s[0:1], s[0:1]
; %bb.67:                               ;   in Loop: Header=BB11_29 Depth=1
	v_bfe_u32 v10, v14, 23, 1
; %bb.68:                               ;   in Loop: Header=BB11_29 Depth=1
	s_or_b64 exec, exec, s[0:1]
	v_lshrrev_b64 v[14:15], 20, v[14:15]
	v_cmp_gt_i32_e32 vcc, 16, v10
	v_cndmask_b32_e32 v15, 0, v15, vcc
	v_cndmask_b32_e32 v14, 7, v14, vcc
	v_cmp_ne_u32_e32 vcc, 0, v10
	v_cmp_ne_u64_e64 s[0:1], 0, v[14:15]
	s_or_b64 s[0:1], vcc, s[0:1]
                                        ; implicit-def: $vgpr6
	s_and_saveexec_b64 s[28:29], s[0:1]
	s_xor_b64 s[0:1], exec, s[28:29]
; %bb.69:                               ;   in Loop: Header=BB11_29 Depth=1
	v_min_i32_e32 v6, 15, v10
	v_lshl_or_b32 v2, v6, 3, v2
	v_and_or_b32 v6, v14, 7, v2
                                        ; implicit-def: $vgpr2
; %bb.70:                               ;   in Loop: Header=BB11_29 Depth=1
	s_andn2_saveexec_b64 s[0:1], s[0:1]
; %bb.71:                               ;   in Loop: Header=BB11_29 Depth=1
	v_mov_b32_e32 v6, v2
; %bb.72:                               ;   in Loop: Header=BB11_29 Depth=1
	s_or_b64 exec, exec, s[0:1]
.LBB11_73:                              ;   in Loop: Header=BB11_29 Depth=1
	s_or_b64 exec, exec, s[16:17]
.LBB11_74:                              ;   in Loop: Header=BB11_29 Depth=1
	s_andn2_saveexec_b64 s[0:1], s[14:15]
	s_or_b64 exec, exec, s[0:1]
                                        ; implicit-def: $vgpr14
.LBB11_75:                              ;   in Loop: Header=BB11_29 Depth=1
	s_andn2_saveexec_b64 s[0:1], s[12:13]
; %bb.76:                               ;   in Loop: Header=BB11_29 Depth=1
	v_or_b32_sdwa v2, v14, s26 dst_sel:DWORD dst_unused:UNUSED_PAD src0_sel:BYTE_3 src1_sel:DWORD
	v_cmp_eq_u64_e32 vcc, 0, v[10:11]
	v_cndmask_b32_e32 v6, v2, v6, vcc
; %bb.77:                               ;   in Loop: Header=BB11_29 Depth=1
	s_or_b64 exec, exec, s[0:1]
	v_fma_mixlo_f16 v2, v1, v3, 0 op_sel:[0,1,0] op_sel_hi:[0,1,0]
	v_mul_f16_sdwa v2, v7, v2 dst_sel:DWORD dst_unused:UNUSED_PAD src0_sel:WORD_1 src1_sel:DWORD
	v_cvt_f32_f16_e32 v2, v2
	v_add_u32_e32 v3, 2, v13
	global_store_byte v3, v6, s[2:3]
	v_mov_b32_e32 v15, v11
	v_mul_f32_e32 v2, v16, v2
	v_min_f32_e32 v2, 0x43e00000, v2
	v_max_f32_e32 v2, 0xc3e00000, v2
	v_and_b32_sdwa v6, v2, s24 dst_sel:DWORD dst_unused:UNUSED_PAD src0_sel:BYTE_3 src1_sel:DWORD
	v_and_b32_e32 v14, 0x7f800000, v2
	v_and_b32_e32 v10, 0x7fffff, v2
	v_or_b32_e32 v3, 0x7e, v6
	v_cmp_ne_u64_e32 vcc, s[6:7], v[14:15]
	s_and_saveexec_b64 s[0:1], vcc
	s_xor_b64 s[12:13], exec, s[0:1]
	s_cbranch_execz .LBB11_91
; %bb.78:                               ;   in Loop: Header=BB11_29 Depth=1
	v_and_b32_e32 v14, 0x7fffffff, v2
	v_mov_b32_e32 v15, v11
	v_cmp_gt_u64_e32 vcc, s[10:11], v[14:15]
	s_and_saveexec_b64 s[0:1], vcc
	s_xor_b64 s[14:15], exec, s[0:1]
	s_cbranch_execz .LBB11_90
; %bb.79:                               ;   in Loop: Header=BB11_29 Depth=1
	v_cmp_ne_u32_e32 vcc, 0, v2
	v_mov_b32_e32 v3, 0
	s_and_saveexec_b64 s[16:17], vcc
	s_cbranch_execz .LBB11_89
; %bb.80:                               ;   in Loop: Header=BB11_29 Depth=1
	v_bfe_u32 v2, v2, 23, 8
	v_sub_u32_e64 v3, s25, v2 clamp
	v_cmp_eq_u32_e32 vcc, 0, v2
	v_cndmask_b32_e32 v20, v3, v17, vcc
	v_add_u32_e32 v19, 0xffffff88, v2
	v_add_u32_e32 v2, 20, v20
	v_or_b32_e32 v7, 0x800000, v10
	v_lshlrev_b64 v[2:3], v2, -1
	v_cndmask_b32_e32 v10, v7, v10, vcc
	v_not_b32_e32 v3, v3
	v_not_b32_e32 v2, v2
	v_add_u32_e32 v7, 19, v20
	v_and_b32_e32 v3, 0, v3
	v_and_b32_e32 v2, v10, v2
	v_lshlrev_b64 v[14:15], v7, 1
	v_cmp_eq_u64_e64 s[0:1], v[2:3], v[14:15]
	v_lshrrev_b64 v[2:3], v20, v[10:11]
	v_cndmask_b32_e32 v7, v19, v18, vcc
	v_lshrrev_b32_e32 v10, 23, v2
	v_add3_u32 v14, v7, v20, v10
	v_and_b32_e32 v10, 0x100000, v2
	v_cmp_eq_u64_e32 vcc, 0, v[10:11]
	s_and_b64 vcc, vcc, s[0:1]
	v_subbrev_co_u32_e32 v7, vcc, 0, v2, vcc
	v_and_b32_e32 v7, 0xfffff, v7
	v_add_co_u32_e32 v2, vcc, v7, v2
	v_add_u32_e32 v15, -1, v14
	v_addc_co_u32_e32 v3, vcc, 0, v3, vcc
	v_cmp_ne_u32_e32 vcc, 0, v15
                                        ; implicit-def: $vgpr7
	s_and_saveexec_b64 s[0:1], vcc
	s_xor_b64 s[0:1], exec, s[0:1]
; %bb.81:                               ;   in Loop: Header=BB11_29 Depth=1
	v_and_b32_e32 v10, 0x1000000, v2
	v_cmp_eq_u64_e32 vcc, 0, v[10:11]
	v_bfe_u32 v10, v2, 24, 1
	v_cndmask_b32_e32 v7, v14, v15, vcc
	v_lshrrev_b64 v[2:3], v10, v[2:3]
; %bb.82:                               ;   in Loop: Header=BB11_29 Depth=1
	s_andn2_saveexec_b64 s[0:1], s[0:1]
; %bb.83:                               ;   in Loop: Header=BB11_29 Depth=1
	v_bfe_u32 v7, v2, 23, 1
; %bb.84:                               ;   in Loop: Header=BB11_29 Depth=1
	s_or_b64 exec, exec, s[0:1]
	v_lshrrev_b64 v[2:3], 20, v[2:3]
	v_cmp_gt_i32_e32 vcc, 16, v7
	v_cndmask_b32_e32 v3, 0, v3, vcc
	v_cndmask_b32_e32 v2, 7, v2, vcc
	v_cmp_ne_u32_e32 vcc, 0, v7
	v_cmp_ne_u64_e64 s[0:1], 0, v[2:3]
	s_or_b64 s[0:1], vcc, s[0:1]
                                        ; implicit-def: $vgpr3
	s_and_saveexec_b64 s[28:29], s[0:1]
	s_xor_b64 s[0:1], exec, s[28:29]
; %bb.85:                               ;   in Loop: Header=BB11_29 Depth=1
	v_min_i32_e32 v3, 15, v7
	v_lshl_or_b32 v3, v3, 3, v6
	v_and_or_b32 v3, v2, 7, v3
                                        ; implicit-def: $vgpr6
; %bb.86:                               ;   in Loop: Header=BB11_29 Depth=1
	s_andn2_saveexec_b64 s[0:1], s[0:1]
; %bb.87:                               ;   in Loop: Header=BB11_29 Depth=1
	v_mov_b32_e32 v3, v6
; %bb.88:                               ;   in Loop: Header=BB11_29 Depth=1
	s_or_b64 exec, exec, s[0:1]
.LBB11_89:                              ;   in Loop: Header=BB11_29 Depth=1
	s_or_b64 exec, exec, s[16:17]
.LBB11_90:                              ;   in Loop: Header=BB11_29 Depth=1
	s_andn2_saveexec_b64 s[0:1], s[14:15]
	s_or_b64 exec, exec, s[0:1]
                                        ; implicit-def: $vgpr2
.LBB11_91:                              ;   in Loop: Header=BB11_29 Depth=1
	s_andn2_saveexec_b64 s[0:1], s[12:13]
; %bb.92:                               ;   in Loop: Header=BB11_29 Depth=1
	v_or_b32_sdwa v2, v2, s26 dst_sel:DWORD dst_unused:UNUSED_PAD src0_sel:BYTE_3 src1_sel:DWORD
	v_cmp_eq_u64_e32 vcc, 0, v[10:11]
	v_cndmask_b32_e32 v3, v2, v3, vcc
; %bb.93:                               ;   in Loop: Header=BB11_29 Depth=1
	s_or_b64 exec, exec, s[0:1]
	v_fma_mixlo_f16 v2, v1, v4, 0 op_sel_hi:[0,1,0]
	v_mul_f16_e32 v2, v8, v2
	v_cvt_f32_f16_e32 v2, v2
	v_add_u32_e32 v6, 3, v13
	global_store_byte v6, v3, s[2:3]
	v_mov_b32_e32 v15, v11
	v_mul_f32_e32 v2, v16, v2
	v_min_f32_e32 v2, 0x43e00000, v2
	v_max_f32_e32 v2, 0xc3e00000, v2
	v_and_b32_sdwa v6, v2, s24 dst_sel:DWORD dst_unused:UNUSED_PAD src0_sel:BYTE_3 src1_sel:DWORD
	v_and_b32_e32 v14, 0x7f800000, v2
	v_and_b32_e32 v10, 0x7fffff, v2
	v_or_b32_e32 v3, 0x7e, v6
	v_cmp_ne_u64_e32 vcc, s[6:7], v[14:15]
	s_and_saveexec_b64 s[0:1], vcc
	s_xor_b64 s[12:13], exec, s[0:1]
	s_cbranch_execz .LBB11_107
; %bb.94:                               ;   in Loop: Header=BB11_29 Depth=1
	v_and_b32_e32 v14, 0x7fffffff, v2
	v_mov_b32_e32 v15, v11
	v_cmp_gt_u64_e32 vcc, s[10:11], v[14:15]
	s_and_saveexec_b64 s[0:1], vcc
	s_xor_b64 s[14:15], exec, s[0:1]
	s_cbranch_execz .LBB11_106
; %bb.95:                               ;   in Loop: Header=BB11_29 Depth=1
	v_cmp_ne_u32_e32 vcc, 0, v2
	v_mov_b32_e32 v3, 0
	s_and_saveexec_b64 s[16:17], vcc
	s_cbranch_execz .LBB11_105
; %bb.96:                               ;   in Loop: Header=BB11_29 Depth=1
	v_bfe_u32 v2, v2, 23, 8
	v_sub_u32_e64 v3, s25, v2 clamp
	v_cmp_eq_u32_e32 vcc, 0, v2
	v_cndmask_b32_e32 v20, v3, v17, vcc
	v_add_u32_e32 v19, 0xffffff88, v2
	v_add_u32_e32 v2, 20, v20
	v_or_b32_e32 v7, 0x800000, v10
	v_lshlrev_b64 v[2:3], v2, -1
	v_cndmask_b32_e32 v10, v7, v10, vcc
	v_not_b32_e32 v3, v3
	v_not_b32_e32 v2, v2
	v_add_u32_e32 v7, 19, v20
	v_and_b32_e32 v3, 0, v3
	v_and_b32_e32 v2, v10, v2
	v_lshlrev_b64 v[14:15], v7, 1
	v_cmp_eq_u64_e64 s[0:1], v[2:3], v[14:15]
	v_lshrrev_b64 v[2:3], v20, v[10:11]
	v_cndmask_b32_e32 v7, v19, v18, vcc
	v_lshrrev_b32_e32 v10, 23, v2
	v_add3_u32 v14, v7, v20, v10
	v_and_b32_e32 v10, 0x100000, v2
	v_cmp_eq_u64_e32 vcc, 0, v[10:11]
	s_and_b64 vcc, vcc, s[0:1]
	v_subbrev_co_u32_e32 v7, vcc, 0, v2, vcc
	v_and_b32_e32 v7, 0xfffff, v7
	v_add_co_u32_e32 v2, vcc, v7, v2
	v_add_u32_e32 v15, -1, v14
	v_addc_co_u32_e32 v3, vcc, 0, v3, vcc
	v_cmp_ne_u32_e32 vcc, 0, v15
                                        ; implicit-def: $vgpr7
	s_and_saveexec_b64 s[0:1], vcc
	s_xor_b64 s[0:1], exec, s[0:1]
; %bb.97:                               ;   in Loop: Header=BB11_29 Depth=1
	v_and_b32_e32 v10, 0x1000000, v2
	v_cmp_eq_u64_e32 vcc, 0, v[10:11]
	v_bfe_u32 v10, v2, 24, 1
	v_cndmask_b32_e32 v7, v14, v15, vcc
	v_lshrrev_b64 v[2:3], v10, v[2:3]
; %bb.98:                               ;   in Loop: Header=BB11_29 Depth=1
	s_andn2_saveexec_b64 s[0:1], s[0:1]
; %bb.99:                               ;   in Loop: Header=BB11_29 Depth=1
	v_bfe_u32 v7, v2, 23, 1
; %bb.100:                              ;   in Loop: Header=BB11_29 Depth=1
	s_or_b64 exec, exec, s[0:1]
	v_lshrrev_b64 v[2:3], 20, v[2:3]
	v_cmp_gt_i32_e32 vcc, 16, v7
	v_cndmask_b32_e32 v3, 0, v3, vcc
	v_cndmask_b32_e32 v2, 7, v2, vcc
	v_cmp_ne_u32_e32 vcc, 0, v7
	v_cmp_ne_u64_e64 s[0:1], 0, v[2:3]
	s_or_b64 s[0:1], vcc, s[0:1]
                                        ; implicit-def: $vgpr3
	s_and_saveexec_b64 s[28:29], s[0:1]
	s_xor_b64 s[0:1], exec, s[28:29]
; %bb.101:                              ;   in Loop: Header=BB11_29 Depth=1
	v_min_i32_e32 v3, 15, v7
	v_lshl_or_b32 v3, v3, 3, v6
	v_and_or_b32 v3, v2, 7, v3
                                        ; implicit-def: $vgpr6
; %bb.102:                              ;   in Loop: Header=BB11_29 Depth=1
	s_andn2_saveexec_b64 s[0:1], s[0:1]
; %bb.103:                              ;   in Loop: Header=BB11_29 Depth=1
	v_mov_b32_e32 v3, v6
; %bb.104:                              ;   in Loop: Header=BB11_29 Depth=1
	s_or_b64 exec, exec, s[0:1]
.LBB11_105:                             ;   in Loop: Header=BB11_29 Depth=1
	s_or_b64 exec, exec, s[16:17]
.LBB11_106:                             ;   in Loop: Header=BB11_29 Depth=1
	s_andn2_saveexec_b64 s[0:1], s[14:15]
	s_or_b64 exec, exec, s[0:1]
                                        ; implicit-def: $vgpr2
.LBB11_107:                             ;   in Loop: Header=BB11_29 Depth=1
	s_andn2_saveexec_b64 s[0:1], s[12:13]
; %bb.108:                              ;   in Loop: Header=BB11_29 Depth=1
	v_or_b32_sdwa v2, v2, s26 dst_sel:DWORD dst_unused:UNUSED_PAD src0_sel:BYTE_3 src1_sel:DWORD
	v_cmp_eq_u64_e32 vcc, 0, v[10:11]
	v_cndmask_b32_e32 v3, v2, v3, vcc
; %bb.109:                              ;   in Loop: Header=BB11_29 Depth=1
	s_or_b64 exec, exec, s[0:1]
	v_fma_mixlo_f16 v2, v1, v4, 0 op_sel:[0,1,0] op_sel_hi:[0,1,0]
	v_mul_f16_sdwa v2, v8, v2 dst_sel:DWORD dst_unused:UNUSED_PAD src0_sel:WORD_1 src1_sel:DWORD
	v_cvt_f32_f16_e32 v2, v2
	v_add_u32_e32 v4, 4, v13
	global_store_byte v4, v3, s[2:3]
	v_mov_b32_e32 v7, v11
	v_mul_f32_e32 v2, v16, v2
	v_min_f32_e32 v2, 0x43e00000, v2
	v_max_f32_e32 v2, 0xc3e00000, v2
	v_and_b32_sdwa v4, v2, s24 dst_sel:DWORD dst_unused:UNUSED_PAD src0_sel:BYTE_3 src1_sel:DWORD
	v_and_b32_e32 v6, 0x7f800000, v2
	v_and_b32_e32 v10, 0x7fffff, v2
	v_or_b32_e32 v3, 0x7e, v4
	v_cmp_ne_u64_e32 vcc, s[6:7], v[6:7]
	s_and_saveexec_b64 s[0:1], vcc
	s_xor_b64 s[12:13], exec, s[0:1]
	s_cbranch_execz .LBB11_123
; %bb.110:                              ;   in Loop: Header=BB11_29 Depth=1
	v_and_b32_e32 v6, 0x7fffffff, v2
	v_mov_b32_e32 v7, v11
	v_cmp_gt_u64_e32 vcc, s[10:11], v[6:7]
	s_and_saveexec_b64 s[0:1], vcc
	s_xor_b64 s[14:15], exec, s[0:1]
	s_cbranch_execz .LBB11_122
; %bb.111:                              ;   in Loop: Header=BB11_29 Depth=1
	v_cmp_ne_u32_e32 vcc, 0, v2
	v_mov_b32_e32 v3, 0
	s_and_saveexec_b64 s[16:17], vcc
	s_cbranch_execz .LBB11_121
; %bb.112:                              ;   in Loop: Header=BB11_29 Depth=1
	v_bfe_u32 v2, v2, 23, 8
	v_sub_u32_e64 v3, s25, v2 clamp
	v_cmp_eq_u32_e32 vcc, 0, v2
	v_cndmask_b32_e32 v14, v3, v17, vcc
	v_add_u32_e32 v8, 0xffffff88, v2
	v_add_u32_e32 v2, 20, v14
	v_or_b32_e32 v6, 0x800000, v10
	v_lshlrev_b64 v[2:3], v2, -1
	v_cndmask_b32_e32 v10, v6, v10, vcc
	v_not_b32_e32 v3, v3
	v_not_b32_e32 v2, v2
	v_add_u32_e32 v6, 19, v14
	v_and_b32_e32 v3, 0, v3
	v_and_b32_e32 v2, v10, v2
	v_lshlrev_b64 v[6:7], v6, 1
	v_cmp_eq_u64_e64 s[0:1], v[2:3], v[6:7]
	v_lshrrev_b64 v[2:3], v14, v[10:11]
	v_and_b32_e32 v10, 0x100000, v2
	v_cndmask_b32_e32 v6, v8, v18, vcc
	v_cmp_eq_u64_e32 vcc, 0, v[10:11]
	v_lshrrev_b32_e32 v7, 23, v2
	s_and_b64 vcc, vcc, s[0:1]
	v_add3_u32 v7, v6, v14, v7
	v_subbrev_co_u32_e32 v6, vcc, 0, v2, vcc
	v_and_b32_e32 v6, 0xfffff, v6
	v_add_co_u32_e32 v2, vcc, v6, v2
	v_add_u32_e32 v8, -1, v7
	v_addc_co_u32_e32 v3, vcc, 0, v3, vcc
	v_cmp_ne_u32_e32 vcc, 0, v8
                                        ; implicit-def: $vgpr6
	s_and_saveexec_b64 s[0:1], vcc
	s_xor_b64 s[0:1], exec, s[0:1]
; %bb.113:                              ;   in Loop: Header=BB11_29 Depth=1
	v_and_b32_e32 v10, 0x1000000, v2
	v_cmp_eq_u64_e32 vcc, 0, v[10:11]
	v_cndmask_b32_e32 v6, v7, v8, vcc
	v_bfe_u32 v7, v2, 24, 1
	v_lshrrev_b64 v[2:3], v7, v[2:3]
; %bb.114:                              ;   in Loop: Header=BB11_29 Depth=1
	s_andn2_saveexec_b64 s[0:1], s[0:1]
; %bb.115:                              ;   in Loop: Header=BB11_29 Depth=1
	v_bfe_u32 v6, v2, 23, 1
; %bb.116:                              ;   in Loop: Header=BB11_29 Depth=1
	s_or_b64 exec, exec, s[0:1]
	v_lshrrev_b64 v[2:3], 20, v[2:3]
	v_cmp_gt_i32_e32 vcc, 16, v6
	v_cndmask_b32_e32 v3, 0, v3, vcc
	v_cndmask_b32_e32 v2, 7, v2, vcc
	v_cmp_ne_u32_e32 vcc, 0, v6
	v_cmp_ne_u64_e64 s[0:1], 0, v[2:3]
	s_or_b64 s[0:1], vcc, s[0:1]
                                        ; implicit-def: $vgpr3
	s_and_saveexec_b64 s[28:29], s[0:1]
	s_xor_b64 s[0:1], exec, s[28:29]
; %bb.117:                              ;   in Loop: Header=BB11_29 Depth=1
	v_min_i32_e32 v3, 15, v6
	v_lshl_or_b32 v3, v3, 3, v4
	v_and_or_b32 v3, v2, 7, v3
                                        ; implicit-def: $vgpr4
; %bb.118:                              ;   in Loop: Header=BB11_29 Depth=1
	s_andn2_saveexec_b64 s[0:1], s[0:1]
; %bb.119:                              ;   in Loop: Header=BB11_29 Depth=1
	v_mov_b32_e32 v3, v4
; %bb.120:                              ;   in Loop: Header=BB11_29 Depth=1
	s_or_b64 exec, exec, s[0:1]
.LBB11_121:                             ;   in Loop: Header=BB11_29 Depth=1
	s_or_b64 exec, exec, s[16:17]
.LBB11_122:                             ;   in Loop: Header=BB11_29 Depth=1
	s_andn2_saveexec_b64 s[0:1], s[14:15]
	s_or_b64 exec, exec, s[0:1]
                                        ; implicit-def: $vgpr2
.LBB11_123:                             ;   in Loop: Header=BB11_29 Depth=1
	s_andn2_saveexec_b64 s[0:1], s[12:13]
; %bb.124:                              ;   in Loop: Header=BB11_29 Depth=1
	v_or_b32_sdwa v2, v2, s26 dst_sel:DWORD dst_unused:UNUSED_PAD src0_sel:BYTE_3 src1_sel:DWORD
	v_cmp_eq_u64_e32 vcc, 0, v[10:11]
	v_cndmask_b32_e32 v3, v2, v3, vcc
; %bb.125:                              ;   in Loop: Header=BB11_29 Depth=1
	s_or_b64 exec, exec, s[0:1]
	v_fma_mixlo_f16 v2, v1, v5, 0 op_sel_hi:[0,1,0]
	v_mul_f16_e32 v2, v9, v2
	v_cvt_f32_f16_e32 v2, v2
	v_add_u32_e32 v4, 5, v13
	global_store_byte v4, v3, s[2:3]
	v_mov_b32_e32 v7, v11
	v_mul_f32_e32 v2, v16, v2
	v_min_f32_e32 v2, 0x43e00000, v2
	v_max_f32_e32 v2, 0xc3e00000, v2
	v_and_b32_sdwa v4, v2, s24 dst_sel:DWORD dst_unused:UNUSED_PAD src0_sel:BYTE_3 src1_sel:DWORD
	v_and_b32_e32 v6, 0x7f800000, v2
	v_and_b32_e32 v10, 0x7fffff, v2
	v_or_b32_e32 v3, 0x7e, v4
	v_cmp_ne_u64_e32 vcc, s[6:7], v[6:7]
	s_and_saveexec_b64 s[0:1], vcc
	s_xor_b64 s[12:13], exec, s[0:1]
	s_cbranch_execz .LBB11_139
; %bb.126:                              ;   in Loop: Header=BB11_29 Depth=1
	v_and_b32_e32 v6, 0x7fffffff, v2
	v_mov_b32_e32 v7, v11
	v_cmp_gt_u64_e32 vcc, s[10:11], v[6:7]
	s_and_saveexec_b64 s[0:1], vcc
	s_xor_b64 s[14:15], exec, s[0:1]
	s_cbranch_execz .LBB11_138
; %bb.127:                              ;   in Loop: Header=BB11_29 Depth=1
	v_cmp_ne_u32_e32 vcc, 0, v2
	v_mov_b32_e32 v3, 0
	s_and_saveexec_b64 s[16:17], vcc
	s_cbranch_execz .LBB11_137
; %bb.128:                              ;   in Loop: Header=BB11_29 Depth=1
	v_bfe_u32 v2, v2, 23, 8
	v_sub_u32_e64 v3, s25, v2 clamp
	v_cmp_eq_u32_e32 vcc, 0, v2
	v_cndmask_b32_e32 v14, v3, v17, vcc
	v_add_u32_e32 v8, 0xffffff88, v2
	v_add_u32_e32 v2, 20, v14
	v_or_b32_e32 v6, 0x800000, v10
	v_lshlrev_b64 v[2:3], v2, -1
	v_cndmask_b32_e32 v10, v6, v10, vcc
	v_not_b32_e32 v3, v3
	v_not_b32_e32 v2, v2
	v_add_u32_e32 v6, 19, v14
	v_and_b32_e32 v3, 0, v3
	v_and_b32_e32 v2, v10, v2
	v_lshlrev_b64 v[6:7], v6, 1
	v_cmp_eq_u64_e64 s[0:1], v[2:3], v[6:7]
	v_lshrrev_b64 v[2:3], v14, v[10:11]
	v_and_b32_e32 v10, 0x100000, v2
	v_cndmask_b32_e32 v6, v8, v18, vcc
	v_cmp_eq_u64_e32 vcc, 0, v[10:11]
	v_lshrrev_b32_e32 v7, 23, v2
	s_and_b64 vcc, vcc, s[0:1]
	v_add3_u32 v7, v6, v14, v7
	v_subbrev_co_u32_e32 v6, vcc, 0, v2, vcc
	v_and_b32_e32 v6, 0xfffff, v6
	v_add_co_u32_e32 v2, vcc, v6, v2
	v_add_u32_e32 v8, -1, v7
	v_addc_co_u32_e32 v3, vcc, 0, v3, vcc
	v_cmp_ne_u32_e32 vcc, 0, v8
                                        ; implicit-def: $vgpr6
	s_and_saveexec_b64 s[0:1], vcc
	s_xor_b64 s[0:1], exec, s[0:1]
; %bb.129:                              ;   in Loop: Header=BB11_29 Depth=1
	v_and_b32_e32 v10, 0x1000000, v2
	v_cmp_eq_u64_e32 vcc, 0, v[10:11]
	v_cndmask_b32_e32 v6, v7, v8, vcc
	v_bfe_u32 v7, v2, 24, 1
	v_lshrrev_b64 v[2:3], v7, v[2:3]
; %bb.130:                              ;   in Loop: Header=BB11_29 Depth=1
	s_andn2_saveexec_b64 s[0:1], s[0:1]
; %bb.131:                              ;   in Loop: Header=BB11_29 Depth=1
	v_bfe_u32 v6, v2, 23, 1
; %bb.132:                              ;   in Loop: Header=BB11_29 Depth=1
	s_or_b64 exec, exec, s[0:1]
	v_lshrrev_b64 v[2:3], 20, v[2:3]
	v_cmp_gt_i32_e32 vcc, 16, v6
	v_cndmask_b32_e32 v3, 0, v3, vcc
	v_cndmask_b32_e32 v2, 7, v2, vcc
	v_cmp_ne_u32_e32 vcc, 0, v6
	v_cmp_ne_u64_e64 s[0:1], 0, v[2:3]
	s_or_b64 s[0:1], vcc, s[0:1]
                                        ; implicit-def: $vgpr3
	s_and_saveexec_b64 s[28:29], s[0:1]
	s_xor_b64 s[0:1], exec, s[28:29]
; %bb.133:                              ;   in Loop: Header=BB11_29 Depth=1
	v_min_i32_e32 v3, 15, v6
	v_lshl_or_b32 v3, v3, 3, v4
	v_and_or_b32 v3, v2, 7, v3
                                        ; implicit-def: $vgpr4
; %bb.134:                              ;   in Loop: Header=BB11_29 Depth=1
	s_andn2_saveexec_b64 s[0:1], s[0:1]
; %bb.135:                              ;   in Loop: Header=BB11_29 Depth=1
	v_mov_b32_e32 v3, v4
; %bb.136:                              ;   in Loop: Header=BB11_29 Depth=1
	s_or_b64 exec, exec, s[0:1]
.LBB11_137:                             ;   in Loop: Header=BB11_29 Depth=1
	s_or_b64 exec, exec, s[16:17]
.LBB11_138:                             ;   in Loop: Header=BB11_29 Depth=1
	s_andn2_saveexec_b64 s[0:1], s[14:15]
	s_or_b64 exec, exec, s[0:1]
                                        ; implicit-def: $vgpr2
.LBB11_139:                             ;   in Loop: Header=BB11_29 Depth=1
	s_andn2_saveexec_b64 s[0:1], s[12:13]
; %bb.140:                              ;   in Loop: Header=BB11_29 Depth=1
	v_or_b32_sdwa v2, v2, s26 dst_sel:DWORD dst_unused:UNUSED_PAD src0_sel:BYTE_3 src1_sel:DWORD
	v_cmp_eq_u64_e32 vcc, 0, v[10:11]
	v_cndmask_b32_e32 v3, v2, v3, vcc
; %bb.141:                              ;   in Loop: Header=BB11_29 Depth=1
	s_or_b64 exec, exec, s[0:1]
	v_fma_mixlo_f16 v2, v1, v5, 0 op_sel:[0,1,0] op_sel_hi:[0,1,0]
	v_mul_f16_sdwa v2, v9, v2 dst_sel:DWORD dst_unused:UNUSED_PAD src0_sel:WORD_1 src1_sel:DWORD
	v_cvt_f32_f16_e32 v2, v2
	v_add_u32_e32 v4, 6, v13
	global_store_byte v4, v3, s[2:3]
	v_mov_b32_e32 v7, v11
	v_mul_f32_e32 v2, v16, v2
	v_min_f32_e32 v2, 0x43e00000, v2
	v_max_f32_e32 v2, 0xc3e00000, v2
	v_and_b32_sdwa v4, v2, s24 dst_sel:DWORD dst_unused:UNUSED_PAD src0_sel:BYTE_3 src1_sel:DWORD
	v_and_b32_e32 v6, 0x7f800000, v2
	v_and_b32_e32 v10, 0x7fffff, v2
	v_or_b32_e32 v3, 0x7e, v4
	v_cmp_ne_u64_e32 vcc, s[6:7], v[6:7]
	s_and_saveexec_b64 s[0:1], vcc
	s_xor_b64 s[12:13], exec, s[0:1]
	s_cbranch_execz .LBB11_155
; %bb.142:                              ;   in Loop: Header=BB11_29 Depth=1
	v_and_b32_e32 v6, 0x7fffffff, v2
	v_mov_b32_e32 v7, v11
	v_cmp_gt_u64_e32 vcc, s[10:11], v[6:7]
	s_and_saveexec_b64 s[0:1], vcc
	s_xor_b64 s[14:15], exec, s[0:1]
	s_cbranch_execz .LBB11_154
; %bb.143:                              ;   in Loop: Header=BB11_29 Depth=1
	v_cmp_ne_u32_e32 vcc, 0, v2
	v_mov_b32_e32 v3, 0
	s_and_saveexec_b64 s[16:17], vcc
	s_cbranch_execz .LBB11_153
; %bb.144:                              ;   in Loop: Header=BB11_29 Depth=1
	v_bfe_u32 v2, v2, 23, 8
	v_sub_u32_e64 v3, s25, v2 clamp
	v_cmp_eq_u32_e32 vcc, 0, v2
	v_cndmask_b32_e32 v9, v3, v17, vcc
	v_add_u32_e32 v8, 0xffffff88, v2
	v_add_u32_e32 v2, 20, v9
	v_or_b32_e32 v5, 0x800000, v10
	v_lshlrev_b64 v[2:3], v2, -1
	v_cndmask_b32_e32 v10, v5, v10, vcc
	v_not_b32_e32 v3, v3
	v_not_b32_e32 v2, v2
	v_add_u32_e32 v5, 19, v9
	v_and_b32_e32 v3, 0, v3
	v_and_b32_e32 v2, v10, v2
	v_lshlrev_b64 v[6:7], v5, 1
	v_cmp_eq_u64_e64 s[0:1], v[2:3], v[6:7]
	v_lshrrev_b64 v[2:3], v9, v[10:11]
	v_and_b32_e32 v10, 0x100000, v2
	v_cndmask_b32_e32 v5, v8, v18, vcc
	v_cmp_eq_u64_e32 vcc, 0, v[10:11]
	v_lshrrev_b32_e32 v6, 23, v2
	s_and_b64 vcc, vcc, s[0:1]
	v_add3_u32 v6, v5, v9, v6
	v_subbrev_co_u32_e32 v5, vcc, 0, v2, vcc
	v_and_b32_e32 v5, 0xfffff, v5
	v_add_co_u32_e32 v2, vcc, v5, v2
	v_add_u32_e32 v7, -1, v6
	v_addc_co_u32_e32 v3, vcc, 0, v3, vcc
	v_cmp_ne_u32_e32 vcc, 0, v7
                                        ; implicit-def: $vgpr5
	s_and_saveexec_b64 s[0:1], vcc
	s_xor_b64 s[0:1], exec, s[0:1]
; %bb.145:                              ;   in Loop: Header=BB11_29 Depth=1
	v_and_b32_e32 v10, 0x1000000, v2
	v_cmp_eq_u64_e32 vcc, 0, v[10:11]
	v_cndmask_b32_e32 v5, v6, v7, vcc
	v_bfe_u32 v6, v2, 24, 1
	v_lshrrev_b64 v[2:3], v6, v[2:3]
; %bb.146:                              ;   in Loop: Header=BB11_29 Depth=1
	s_andn2_saveexec_b64 s[0:1], s[0:1]
; %bb.147:                              ;   in Loop: Header=BB11_29 Depth=1
	v_bfe_u32 v5, v2, 23, 1
; %bb.148:                              ;   in Loop: Header=BB11_29 Depth=1
	s_or_b64 exec, exec, s[0:1]
	v_lshrrev_b64 v[2:3], 20, v[2:3]
	v_cmp_gt_i32_e32 vcc, 16, v5
	v_cndmask_b32_e32 v3, 0, v3, vcc
	v_cndmask_b32_e32 v2, 7, v2, vcc
	v_cmp_ne_u32_e32 vcc, 0, v5
	v_cmp_ne_u64_e64 s[0:1], 0, v[2:3]
	s_or_b64 s[0:1], vcc, s[0:1]
                                        ; implicit-def: $vgpr3
	s_and_saveexec_b64 s[28:29], s[0:1]
	s_xor_b64 s[0:1], exec, s[28:29]
; %bb.149:                              ;   in Loop: Header=BB11_29 Depth=1
	v_min_i32_e32 v3, 15, v5
	v_lshl_or_b32 v3, v3, 3, v4
	v_and_or_b32 v3, v2, 7, v3
                                        ; implicit-def: $vgpr4
; %bb.150:                              ;   in Loop: Header=BB11_29 Depth=1
	s_andn2_saveexec_b64 s[0:1], s[0:1]
; %bb.151:                              ;   in Loop: Header=BB11_29 Depth=1
	v_mov_b32_e32 v3, v4
; %bb.152:                              ;   in Loop: Header=BB11_29 Depth=1
	s_or_b64 exec, exec, s[0:1]
.LBB11_153:                             ;   in Loop: Header=BB11_29 Depth=1
	s_or_b64 exec, exec, s[16:17]
.LBB11_154:                             ;   in Loop: Header=BB11_29 Depth=1
	s_andn2_saveexec_b64 s[0:1], s[14:15]
	s_or_b64 exec, exec, s[0:1]
                                        ; implicit-def: $vgpr2
.LBB11_155:                             ;   in Loop: Header=BB11_29 Depth=1
	s_andn2_saveexec_b64 s[0:1], s[12:13]
	s_cbranch_execz .LBB11_28
; %bb.156:                              ;   in Loop: Header=BB11_29 Depth=1
	v_or_b32_sdwa v2, v2, s26 dst_sel:DWORD dst_unused:UNUSED_PAD src0_sel:BYTE_3 src1_sel:DWORD
	v_cmp_eq_u64_e32 vcc, 0, v[10:11]
	v_cndmask_b32_e32 v3, v2, v3, vcc
	s_branch .LBB11_28
.LBB11_157:
	s_endpgm
	.section	.rodata,"a",@progbits
	.p2align	6, 0x0
	.amdhsa_kernel _ZN4vllm32rms_norm_static_fp8_quant_kernelIN3c104HalfENS1_13Float8_e4m3fnELi8EEEvPT0_PKT_iS8_PKffii
		.amdhsa_group_segment_fixed_size 68
		.amdhsa_private_segment_fixed_size 0
		.amdhsa_kernarg_size 312
		.amdhsa_user_sgpr_count 6
		.amdhsa_user_sgpr_private_segment_buffer 1
		.amdhsa_user_sgpr_dispatch_ptr 0
		.amdhsa_user_sgpr_queue_ptr 0
		.amdhsa_user_sgpr_kernarg_segment_ptr 1
		.amdhsa_user_sgpr_dispatch_id 0
		.amdhsa_user_sgpr_flat_scratch_init 0
		.amdhsa_user_sgpr_kernarg_preload_length 0
		.amdhsa_user_sgpr_kernarg_preload_offset 0
		.amdhsa_user_sgpr_private_segment_size 0
		.amdhsa_uses_dynamic_stack 0
		.amdhsa_system_sgpr_private_segment_wavefront_offset 0
		.amdhsa_system_sgpr_workgroup_id_x 1
		.amdhsa_system_sgpr_workgroup_id_y 0
		.amdhsa_system_sgpr_workgroup_id_z 0
		.amdhsa_system_sgpr_workgroup_info 0
		.amdhsa_system_vgpr_workitem_id 0
		.amdhsa_next_free_vgpr 24
		.amdhsa_next_free_sgpr 30
		.amdhsa_accum_offset 24
		.amdhsa_reserve_vcc 1
		.amdhsa_reserve_flat_scratch 0
		.amdhsa_float_round_mode_32 0
		.amdhsa_float_round_mode_16_64 0
		.amdhsa_float_denorm_mode_32 3
		.amdhsa_float_denorm_mode_16_64 3
		.amdhsa_dx10_clamp 1
		.amdhsa_ieee_mode 1
		.amdhsa_fp16_overflow 0
		.amdhsa_tg_split 0
		.amdhsa_exception_fp_ieee_invalid_op 0
		.amdhsa_exception_fp_denorm_src 0
		.amdhsa_exception_fp_ieee_div_zero 0
		.amdhsa_exception_fp_ieee_overflow 0
		.amdhsa_exception_fp_ieee_underflow 0
		.amdhsa_exception_fp_ieee_inexact 0
		.amdhsa_exception_int_div_zero 0
	.end_amdhsa_kernel
	.section	.text._ZN4vllm32rms_norm_static_fp8_quant_kernelIN3c104HalfENS1_13Float8_e4m3fnELi8EEEvPT0_PKT_iS8_PKffii,"axG",@progbits,_ZN4vllm32rms_norm_static_fp8_quant_kernelIN3c104HalfENS1_13Float8_e4m3fnELi8EEEvPT0_PKT_iS8_PKffii,comdat
.Lfunc_end11:
	.size	_ZN4vllm32rms_norm_static_fp8_quant_kernelIN3c104HalfENS1_13Float8_e4m3fnELi8EEEvPT0_PKT_iS8_PKffii, .Lfunc_end11-_ZN4vllm32rms_norm_static_fp8_quant_kernelIN3c104HalfENS1_13Float8_e4m3fnELi8EEEvPT0_PKT_iS8_PKffii
                                        ; -- End function
	.section	.AMDGPU.csdata,"",@progbits
; Kernel info:
; codeLenInByte = 5708
; NumSgprs: 34
; NumVgprs: 24
; NumAgprs: 0
; TotalNumVgprs: 24
; ScratchSize: 0
; MemoryBound: 0
; FloatMode: 240
; IeeeMode: 1
; LDSByteSize: 68 bytes/workgroup (compile time only)
; SGPRBlocks: 4
; VGPRBlocks: 2
; NumSGPRsForWavesPerEU: 34
; NumVGPRsForWavesPerEU: 24
; AccumOffset: 24
; Occupancy: 8
; WaveLimiterHint : 0
; COMPUTE_PGM_RSRC2:SCRATCH_EN: 0
; COMPUTE_PGM_RSRC2:USER_SGPR: 6
; COMPUTE_PGM_RSRC2:TRAP_HANDLER: 0
; COMPUTE_PGM_RSRC2:TGID_X_EN: 1
; COMPUTE_PGM_RSRC2:TGID_Y_EN: 0
; COMPUTE_PGM_RSRC2:TGID_Z_EN: 0
; COMPUTE_PGM_RSRC2:TIDIG_COMP_CNT: 0
; COMPUTE_PGM_RSRC3_GFX90A:ACCUM_OFFSET: 5
; COMPUTE_PGM_RSRC3_GFX90A:TG_SPLIT: 0
	.section	.text._ZN4vllm32rms_norm_static_fp8_quant_kernelIN3c104HalfENS1_13Float8_e4m3fnELi4EEEvPT0_PKT_iS8_PKffii,"axG",@progbits,_ZN4vllm32rms_norm_static_fp8_quant_kernelIN3c104HalfENS1_13Float8_e4m3fnELi4EEEvPT0_PKT_iS8_PKffii,comdat
	.protected	_ZN4vllm32rms_norm_static_fp8_quant_kernelIN3c104HalfENS1_13Float8_e4m3fnELi4EEEvPT0_PKT_iS8_PKffii ; -- Begin function _ZN4vllm32rms_norm_static_fp8_quant_kernelIN3c104HalfENS1_13Float8_e4m3fnELi4EEEvPT0_PKT_iS8_PKffii
	.globl	_ZN4vllm32rms_norm_static_fp8_quant_kernelIN3c104HalfENS1_13Float8_e4m3fnELi4EEEvPT0_PKT_iS8_PKffii
	.p2align	8
	.type	_ZN4vllm32rms_norm_static_fp8_quant_kernelIN3c104HalfENS1_13Float8_e4m3fnELi4EEEvPT0_PKT_iS8_PKffii,@function
_ZN4vllm32rms_norm_static_fp8_quant_kernelIN3c104HalfENS1_13Float8_e4m3fnELi4EEEvPT0_PKT_iS8_PKffii: ; @_ZN4vllm32rms_norm_static_fp8_quant_kernelIN3c104HalfENS1_13Float8_e4m3fnELi4EEEvPT0_PKT_iS8_PKffii
; %bb.0:
	s_load_dword s2, s[4:5], 0x10
	s_load_dwordx2 s[0:1], s[4:5], 0x8
	s_load_dword s7, s[4:5], 0x30
	s_load_dword s10, s[4:5], 0x44
	s_mov_b32 s9, 0
	s_waitcnt lgkmcnt(0)
	s_mul_i32 s8, s6, s2
	s_lshl_b64 s[2:3], s[8:9], 1
	s_add_u32 s18, s0, s2
	s_addc_u32 s19, s1, s3
	s_and_b32 s20, s10, 0xffff
	s_and_b32 s8, s18, 7
	s_cmp_lg_u64 s[8:9], 0
	s_cselect_b64 s[8:9], -1, 0
	s_and_b32 s10, s7, 3
	s_cmp_lg_u32 s10, 0
	s_cselect_b64 s[10:11], -1, 0
	s_or_b64 s[8:9], s[8:9], s[10:11]
	s_and_b64 vcc, exec, s[8:9]
	s_cbranch_vccz .LBB12_14
; %bb.1:
	s_sub_i32 s8, 0, s18
	s_bfe_u32 s8, s8, 0x20001
	s_min_i32 s8, s8, s7
	v_cmp_gt_i32_e32 vcc, s8, v0
	v_mov_b32_e32 v1, 0
	s_and_saveexec_b64 s[10:11], vcc
	s_cbranch_execz .LBB12_5
; %bb.2:
	s_add_u32 s9, s0, s2
	v_lshlrev_b32_e32 v1, 1, v0
	s_addc_u32 s12, s1, s3
	s_mov_b32 s14, 0
	v_mov_b32_e32 v3, s12
	v_add_co_u32_e32 v2, vcc, s9, v1
	v_addc_co_u32_e32 v3, vcc, 0, v3, vcc
	s_lshl_b32 s9, s20, 1
	s_mov_b64 s[12:13], 0
	v_mov_b32_e32 v1, 0
	v_mov_b32_e32 v4, s14
	;; [unrolled: 1-line block ×3, first 2 shown]
.LBB12_3:                               ; =>This Inner Loop Header: Depth=1
	global_load_ushort v6, v[2:3], off
	v_add_co_u32_e32 v2, vcc, s9, v2
	v_add_u32_e32 v5, s20, v5
	v_addc_co_u32_e32 v3, vcc, v3, v4, vcc
	v_cmp_le_i32_e32 vcc, s8, v5
	s_or_b64 s[12:13], vcc, s[12:13]
	s_waitcnt vmcnt(0)
	v_fma_mix_f32 v1, v6, v6, v1 op_sel_hi:[1,1,0]
	s_andn2_b64 exec, exec, s[12:13]
	s_cbranch_execnz .LBB12_3
; %bb.4:
	s_or_b64 exec, exec, s[12:13]
.LBB12_5:
	s_or_b64 exec, exec, s[10:11]
	s_sub_i32 s14, s7, s8
	s_ashr_i32 s10, s14, 31
	s_lshr_b32 s10, s10, 30
	s_add_i32 s10, s14, s10
	s_ashr_i32 s15, s10, 2
	s_ashr_i32 s9, s8, 31
	v_cmp_gt_i32_e32 vcc, s15, v0
	s_and_saveexec_b64 s[10:11], vcc
	s_cbranch_execz .LBB12_9
; %bb.6:
	s_lshl_b64 s[12:13], s[8:9], 1
	s_add_u32 s16, s0, s2
	s_addc_u32 s21, s1, s3
	s_add_u32 s12, s16, s12
	v_lshlrev_b32_e32 v2, 3, v0
	s_addc_u32 s13, s21, s13
	v_mov_b32_e32 v3, s13
	v_add_co_u32_e32 v2, vcc, s12, v2
	v_addc_co_u32_e32 v3, vcc, 0, v3, vcc
	s_mov_b32 s17, 0
	v_add_co_u32_e32 v2, vcc, 4, v2
	v_addc_co_u32_e32 v3, vcc, 0, v3, vcc
	s_lshl_b32 s16, s20, 3
	s_mov_b64 s[12:13], 0
	v_mov_b32_e32 v4, s17
	v_mov_b32_e32 v5, v0
.LBB12_7:                               ; =>This Inner Loop Header: Depth=1
	global_load_dwordx2 v[6:7], v[2:3], off offset:-4
	v_add_co_u32_e32 v2, vcc, s16, v2
	v_add_u32_e32 v5, s20, v5
	v_addc_co_u32_e32 v3, vcc, v3, v4, vcc
	v_cmp_le_i32_e32 vcc, s15, v5
	s_or_b64 s[12:13], vcc, s[12:13]
	s_waitcnt vmcnt(0)
	v_fma_mix_f32 v1, v6, v6, v1 op_sel_hi:[1,1,0]
	v_fma_mix_f32 v1, v6, v6, v1 op_sel:[1,1,0] op_sel_hi:[1,1,0]
	v_fma_mix_f32 v1, v7, v7, v1 op_sel_hi:[1,1,0]
	v_fma_mix_f32 v1, v7, v7, v1 op_sel:[1,1,0] op_sel_hi:[1,1,0]
	s_andn2_b64 exec, exec, s[12:13]
	s_cbranch_execnz .LBB12_7
; %bb.8:
	s_or_b64 exec, exec, s[12:13]
.LBB12_9:
	s_or_b64 exec, exec, s[10:11]
	v_lshl_add_u32 v2, s15, 2, v0
	v_cmp_gt_i32_e32 vcc, s14, v2
	s_and_saveexec_b64 s[10:11], vcc
	s_cbranch_execz .LBB12_13
; %bb.10:
	s_lshl_b64 s[8:9], s[8:9], 1
	s_add_u32 s12, s0, s2
	s_addc_u32 s13, s1, s3
	v_ashrrev_i32_e32 v3, 31, v2
	s_add_u32 s8, s12, s8
	v_lshlrev_b64 v[4:5], 1, v[2:3]
	s_addc_u32 s9, s13, s9
	v_mov_b32_e32 v3, s9
	v_add_co_u32_e32 v4, vcc, s8, v4
	s_mov_b32 s13, 0
	v_addc_co_u32_e32 v5, vcc, v3, v5, vcc
	s_lshl_b32 s12, s20, 1
	s_mov_b64 s[8:9], 0
	v_mov_b32_e32 v3, s13
.LBB12_11:                              ; =>This Inner Loop Header: Depth=1
	global_load_ushort v6, v[4:5], off
	v_add_co_u32_e32 v4, vcc, s12, v4
	v_add_u32_e32 v2, s20, v2
	v_addc_co_u32_e32 v5, vcc, v5, v3, vcc
	v_cmp_le_i32_e32 vcc, s14, v2
	s_or_b64 s[8:9], vcc, s[8:9]
	s_waitcnt vmcnt(0)
	v_fma_mix_f32 v1, v6, v6, v1 op_sel_hi:[1,1,0]
	s_andn2_b64 exec, exec, s[8:9]
	s_cbranch_execnz .LBB12_11
; %bb.12:
	s_or_b64 exec, exec, s[8:9]
.LBB12_13:
	s_or_b64 exec, exec, s[10:11]
	s_branch .LBB12_20
.LBB12_14:
                                        ; implicit-def: $vgpr1
	s_cbranch_execz .LBB12_20
; %bb.15:
	s_ashr_i32 s10, s7, 2
	v_cmp_gt_i32_e32 vcc, s10, v0
	v_mov_b32_e32 v1, 0
	s_and_saveexec_b64 s[8:9], vcc
	s_cbranch_execz .LBB12_19
; %bb.16:
	s_add_u32 s0, s0, s2
	v_lshlrev_b32_e32 v1, 3, v0
	s_addc_u32 s1, s1, s3
	v_mov_b32_e32 v2, s1
	v_add_co_u32_e32 v1, vcc, s0, v1
	v_addc_co_u32_e32 v3, vcc, 0, v2, vcc
	s_mov_b32 s11, 0
	v_add_co_u32_e32 v2, vcc, 4, v1
	v_addc_co_u32_e32 v3, vcc, 0, v3, vcc
	s_lshl_b32 s2, s20, 3
	s_mov_b64 s[0:1], 0
	v_mov_b32_e32 v1, 0
	v_mov_b32_e32 v4, s11
	;; [unrolled: 1-line block ×3, first 2 shown]
.LBB12_17:                              ; =>This Inner Loop Header: Depth=1
	global_load_dwordx2 v[6:7], v[2:3], off offset:-4
	v_add_co_u32_e32 v2, vcc, s2, v2
	v_add_u32_e32 v5, s20, v5
	v_addc_co_u32_e32 v3, vcc, v3, v4, vcc
	v_cmp_le_i32_e32 vcc, s10, v5
	s_or_b64 s[0:1], vcc, s[0:1]
	s_waitcnt vmcnt(0)
	v_fma_mix_f32 v1, v6, v6, v1 op_sel_hi:[1,1,0]
	v_fma_mix_f32 v1, v6, v6, v1 op_sel:[1,1,0] op_sel_hi:[1,1,0]
	v_fma_mix_f32 v1, v7, v7, v1 op_sel_hi:[1,1,0]
	v_fma_mix_f32 v1, v7, v7, v1 op_sel:[1,1,0] op_sel_hi:[1,1,0]
	s_andn2_b64 exec, exec, s[0:1]
	s_cbranch_execnz .LBB12_17
; %bb.18:
	s_or_b64 exec, exec, s[0:1]
.LBB12_19:
	s_or_b64 exec, exec, s[8:9]
.LBB12_20:
	v_mbcnt_lo_u32_b32 v2, -1, 0
	v_mbcnt_hi_u32_b32 v2, -1, v2
	v_and_b32_e32 v3, 63, v2
	v_cmp_ne_u32_e32 vcc, 63, v3
	v_addc_co_u32_e32 v4, vcc, 0, v2, vcc
	v_lshlrev_b32_e32 v4, 2, v4
	ds_bpermute_b32 v4, v4, v1
	v_and_b32_e32 v5, 0x3c0, v0
	v_sub_u32_e64 v5, s20, v5 clamp
	v_add_u32_e32 v6, 1, v2
	v_cmp_lt_u32_e32 vcc, v6, v5
	s_waitcnt lgkmcnt(0)
	v_add_f32_e32 v4, v1, v4
	v_cndmask_b32_e32 v1, v1, v4, vcc
	v_cmp_gt_u32_e32 vcc, 62, v3
	v_cndmask_b32_e64 v4, 0, 1, vcc
	v_lshlrev_b32_e32 v4, 1, v4
	v_add_lshl_u32 v4, v4, v2, 2
	ds_bpermute_b32 v4, v4, v1
	v_add_u32_e32 v6, 2, v2
	v_cmp_lt_u32_e32 vcc, v6, v5
	v_add_u32_e32 v6, 4, v2
	s_waitcnt lgkmcnt(0)
	v_add_f32_e32 v4, v1, v4
	v_cndmask_b32_e32 v1, v1, v4, vcc
	v_cmp_gt_u32_e32 vcc, 60, v3
	v_cndmask_b32_e64 v4, 0, 1, vcc
	v_lshlrev_b32_e32 v4, 2, v4
	v_add_lshl_u32 v4, v4, v2, 2
	ds_bpermute_b32 v4, v4, v1
	v_cmp_lt_u32_e32 vcc, v6, v5
	v_add_u32_e32 v6, 8, v2
	s_waitcnt lgkmcnt(0)
	v_add_f32_e32 v4, v1, v4
	v_cndmask_b32_e32 v1, v1, v4, vcc
	v_cmp_gt_u32_e32 vcc, 56, v3
	v_cndmask_b32_e64 v4, 0, 1, vcc
	v_lshlrev_b32_e32 v4, 3, v4
	v_add_lshl_u32 v4, v4, v2, 2
	ds_bpermute_b32 v4, v4, v1
	;; [unrolled: 10-line block ×3, first 2 shown]
	v_cmp_lt_u32_e32 vcc, v6, v5
	s_waitcnt lgkmcnt(0)
	v_add_f32_e32 v4, v1, v4
	v_cndmask_b32_e32 v1, v1, v4, vcc
	v_cmp_gt_u32_e32 vcc, 32, v3
	v_cndmask_b32_e64 v3, 0, 1, vcc
	v_lshlrev_b32_e32 v3, 5, v3
	v_add_lshl_u32 v3, v3, v2, 2
	ds_bpermute_b32 v3, v3, v1
	v_add_u32_e32 v4, 32, v2
	v_cmp_lt_u32_e32 vcc, v4, v5
	s_waitcnt lgkmcnt(0)
	v_add_f32_e32 v3, v1, v3
	v_cndmask_b32_e32 v1, v1, v3, vcc
	v_cmp_eq_u32_e32 vcc, 0, v2
	s_and_saveexec_b64 s[0:1], vcc
	s_cbranch_execz .LBB12_22
; %bb.21:
	v_lshrrev_b32_e32 v3, 4, v0
	v_and_b32_e32 v3, 60, v3
	ds_write_b32 v3, v1
.LBB12_22:
	s_or_b64 exec, exec, s[0:1]
	v_cmp_gt_u32_e32 vcc, 16, v0
	s_waitcnt lgkmcnt(0)
	s_barrier
	s_and_saveexec_b64 s[2:3], vcc
	s_cbranch_execz .LBB12_24
; %bb.23:
	v_lshlrev_b32_e32 v1, 2, v2
	ds_read_b32 v1, v1
	v_and_b32_e32 v3, 15, v2
	v_cmp_ne_u32_e32 vcc, 15, v3
	v_addc_co_u32_e32 v4, vcc, 0, v2, vcc
	v_lshlrev_b32_e32 v4, 2, v4
	s_waitcnt lgkmcnt(0)
	ds_bpermute_b32 v4, v4, v1
	s_add_i32 s0, s20, 63
	s_lshr_b32 s8, s0, 6
	v_add_u32_e32 v5, 1, v3
	v_cmp_gt_u32_e64 s[0:1], 14, v3
	v_cmp_gt_u32_e32 vcc, s8, v5
	v_cndmask_b32_e64 v5, 0, 1, s[0:1]
	s_waitcnt lgkmcnt(0)
	v_add_f32_e32 v4, v1, v4
	v_lshlrev_b32_e32 v5, 1, v5
	v_cndmask_b32_e32 v4, v1, v4, vcc
	v_add_lshl_u32 v5, v5, v2, 2
	ds_bpermute_b32 v5, v5, v4
	v_add_u32_e32 v6, 2, v3
	v_cmp_gt_u32_e64 s[0:1], s8, v6
	v_add_u32_e32 v6, 4, v3
	s_waitcnt lgkmcnt(0)
	v_add_f32_e32 v5, v4, v5
	v_cndmask_b32_e64 v4, v4, v5, s[0:1]
	v_cmp_gt_u32_e64 s[0:1], 12, v3
	v_cndmask_b32_e64 v5, 0, 1, s[0:1]
	v_lshlrev_b32_e32 v5, 2, v5
	v_add_lshl_u32 v5, v5, v2, 2
	ds_bpermute_b32 v5, v5, v4
	v_cmp_gt_u32_e64 s[0:1], s8, v6
	s_waitcnt lgkmcnt(0)
	v_add_f32_e32 v5, v4, v5
	v_cndmask_b32_e64 v4, v4, v5, s[0:1]
	v_cmp_gt_u32_e64 s[0:1], 8, v3
	v_cndmask_b32_e64 v5, 0, 1, s[0:1]
	v_lshlrev_b32_e32 v5, 3, v5
	v_add_lshl_u32 v2, v5, v2, 2
	ds_bpermute_b32 v2, v2, v4
	v_add_u32_e32 v3, 8, v3
	v_cmp_gt_u32_e64 s[0:1], s8, v3
	s_waitcnt lgkmcnt(0)
	v_add_f32_e32 v2, v4, v2
	v_cndmask_b32_e64 v2, v4, v2, s[0:1]
	v_cndmask_b32_e32 v1, v1, v2, vcc
.LBB12_24:
	s_or_b64 exec, exec, s[2:3]
	v_cmp_eq_u32_e32 vcc, 0, v0
	s_and_saveexec_b64 s[0:1], vcc
	s_cbranch_execz .LBB12_26
; %bb.25:
	v_cvt_f32_i32_e32 v2, s7
	s_load_dword s8, s[4:5], 0x28
	v_div_scale_f32 v3, s[2:3], v2, v2, v1
	v_rcp_f32_e32 v4, v3
	v_div_scale_f32 v5, vcc, v1, v2, v1
	s_mov_b32 s2, 0x800000
	v_fma_f32 v6, -v3, v4, 1.0
	v_fmac_f32_e32 v4, v6, v4
	v_mul_f32_e32 v6, v5, v4
	v_fma_f32 v7, -v3, v6, v5
	v_fmac_f32_e32 v6, v7, v4
	v_fma_f32 v3, -v3, v6, v5
	v_div_fmas_f32 v3, v3, v4, v6
	v_div_fixup_f32 v1, v3, v2, v1
	s_waitcnt lgkmcnt(0)
	v_add_f32_e32 v1, s8, v1
	v_mul_f32_e32 v2, 0x4b800000, v1
	v_cmp_gt_f32_e32 vcc, s2, v1
	v_cndmask_b32_e32 v1, v1, v2, vcc
	v_rsq_f32_e32 v1, v1
	v_mul_f32_e32 v2, 0x45800000, v1
	v_cndmask_b32_e32 v1, v1, v2, vcc
	v_mov_b32_e32 v2, 0
	ds_write_b32 v2, v1 offset:64
.LBB12_26:
	s_or_b64 exec, exec, s[0:1]
	s_ashr_i32 s0, s7, 31
	s_lshr_b32 s0, s0, 30
	s_add_i32 s0, s7, s0
	s_ashr_i32 s21, s0, 2
	v_cmp_gt_i32_e32 vcc, s21, v0
	s_waitcnt lgkmcnt(0)
	s_barrier
	s_and_saveexec_b64 s[0:1], vcc
	s_cbranch_execz .LBB12_93
; %bb.27:
	s_load_dwordx4 s[8:11], s[4:5], 0x18
	s_load_dwordx2 s[2:3], s[4:5], 0x0
	v_mov_b32_e32 v3, 0
	ds_read_b32 v1, v3 offset:64
	s_mul_i32 s6, s6, s7
	s_waitcnt lgkmcnt(0)
	s_load_dword s4, s[10:11], 0x0
	s_lshl_b32 s22, s20, 2
	v_lshlrev_b32_e32 v4, 3, v0
	v_lshl_add_u32 v5, v0, 2, s6
	s_lshl_b32 s23, s20, 3
	s_waitcnt lgkmcnt(0)
	v_div_scale_f32 v2, s[0:1], s4, s4, 1.0
	v_rcp_f32_e32 v6, v2
	v_div_scale_f32 v7, vcc, 1.0, s4, 1.0
	s_movk_i32 s24, 0x80
	v_fma_f32 v8, -v2, v6, 1.0
	v_fmac_f32_e32 v6, v8, v6
	v_mul_f32_e32 v8, v7, v6
	v_fma_f32 v9, -v2, v8, v7
	v_fmac_f32_e32 v8, v9, v6
	v_fma_f32 v2, -v2, v8, v7
	v_div_fmas_f32 v2, v2, v6, v8
	v_div_fixup_f32 v12, v2, s4, 1.0
	s_mov_b64 s[4:5], 0
	s_mov_b64 s[6:7], 0x7f800000
	;; [unrolled: 1-line block ×3, first 2 shown]
	s_movk_i32 s25, 0x79
	s_movk_i32 s26, 0x7f
	v_mov_b32_e32 v13, 0x78
	v_mov_b32_e32 v14, 0xffffff89
	s_branch .LBB12_29
.LBB12_28:                              ;   in Loop: Header=BB12_29 Depth=1
	s_or_b64 exec, exec, s[0:1]
	s_add_u32 s8, s8, s23
	s_addc_u32 s9, s9, 0
	v_add_u32_e32 v0, s20, v0
	s_add_u32 s18, s18, s23
	s_addc_u32 s19, s19, 0
	v_cmp_le_i32_e32 vcc, s21, v0
	v_add_u32_e32 v2, 3, v5
	s_or_b64 s[4:5], vcc, s[4:5]
	v_add_u32_e32 v5, s22, v5
	global_store_byte v2, v7, s[2:3]
	s_andn2_b64 exec, exec, s[4:5]
	s_cbranch_execz .LBB12_93
.LBB12_29:                              ; =>This Inner Loop Header: Depth=1
	v_mov_b32_e32 v2, s19
	v_add_co_u32_e32 v6, vcc, s18, v4
	v_addc_co_u32_e32 v7, vcc, 0, v2, vcc
	v_mov_b32_e32 v2, s9
	v_add_co_u32_e32 v8, vcc, s8, v4
	global_load_dwordx2 v[6:7], v[6:7], off
	v_addc_co_u32_e32 v9, vcc, 0, v2, vcc
	global_load_dwordx2 v[8:9], v[8:9], off
	v_mov_b32_e32 v17, v3
	s_waitcnt vmcnt(1)
	v_fma_mixlo_f16 v2, v1, v6, 0 op_sel_hi:[0,1,0]
	s_waitcnt vmcnt(0)
	v_mul_f16_e32 v2, v8, v2
	v_cvt_f32_f16_e32 v2, v2
	v_mul_f32_e32 v2, v12, v2
	v_min_f32_e32 v2, 0x43e00000, v2
	v_max_f32_e32 v10, 0xc3e00000, v2
	v_and_b32_sdwa v15, v10, s24 dst_sel:DWORD dst_unused:UNUSED_PAD src0_sel:BYTE_3 src1_sel:DWORD
	v_and_b32_e32 v16, 0x7f800000, v10
	v_and_b32_e32 v2, 0x7fffff, v10
	v_or_b32_e32 v11, 0x7e, v15
	v_cmp_ne_u64_e32 vcc, s[6:7], v[16:17]
	s_and_saveexec_b64 s[0:1], vcc
	s_xor_b64 s[12:13], exec, s[0:1]
	s_cbranch_execz .LBB12_43
; %bb.30:                               ;   in Loop: Header=BB12_29 Depth=1
	v_and_b32_e32 v16, 0x7fffffff, v10
	v_mov_b32_e32 v17, v3
	v_cmp_gt_u64_e32 vcc, s[10:11], v[16:17]
	s_and_saveexec_b64 s[0:1], vcc
	s_xor_b64 s[14:15], exec, s[0:1]
	s_cbranch_execz .LBB12_42
; %bb.31:                               ;   in Loop: Header=BB12_29 Depth=1
	v_cmp_ne_u32_e32 vcc, 0, v10
	v_mov_b32_e32 v11, 0
	s_and_saveexec_b64 s[16:17], vcc
	s_cbranch_execz .LBB12_41
; %bb.32:                               ;   in Loop: Header=BB12_29 Depth=1
	v_bfe_u32 v10, v10, 23, 8
	v_sub_u32_e64 v11, s25, v10 clamp
	v_cmp_eq_u32_e32 vcc, 0, v10
	v_cndmask_b32_e32 v19, v11, v13, vcc
	v_add_u32_e32 v18, 0xffffff88, v10
	v_add_u32_e32 v10, 20, v19
	v_or_b32_e32 v16, 0x800000, v2
	v_lshlrev_b64 v[10:11], v10, -1
	v_cndmask_b32_e32 v2, v16, v2, vcc
	v_not_b32_e32 v11, v11
	v_not_b32_e32 v10, v10
	v_add_u32_e32 v16, 19, v19
	v_and_b32_e32 v11, 0, v11
	v_and_b32_e32 v10, v2, v10
	v_lshlrev_b64 v[16:17], v16, 1
	v_cmp_eq_u64_e64 s[0:1], v[10:11], v[16:17]
	v_lshrrev_b64 v[10:11], v19, v[2:3]
	v_cndmask_b32_e32 v2, v18, v14, vcc
	v_lshrrev_b32_e32 v16, 23, v10
	v_add3_u32 v16, v2, v19, v16
	v_and_b32_e32 v2, 0x100000, v10
	v_cmp_eq_u64_e32 vcc, 0, v[2:3]
	s_and_b64 vcc, vcc, s[0:1]
	v_subbrev_co_u32_e32 v2, vcc, 0, v10, vcc
	v_and_b32_e32 v2, 0xfffff, v2
	v_add_co_u32_e32 v10, vcc, v2, v10
	v_add_u32_e32 v17, -1, v16
	v_addc_co_u32_e32 v11, vcc, 0, v11, vcc
	v_cmp_ne_u32_e32 vcc, 0, v17
                                        ; implicit-def: $vgpr2
	s_and_saveexec_b64 s[0:1], vcc
	s_xor_b64 s[0:1], exec, s[0:1]
; %bb.33:                               ;   in Loop: Header=BB12_29 Depth=1
	v_and_b32_e32 v2, 0x1000000, v10
	v_cmp_eq_u64_e32 vcc, 0, v[2:3]
	v_cndmask_b32_e32 v2, v16, v17, vcc
	v_bfe_u32 v16, v10, 24, 1
	v_lshrrev_b64 v[10:11], v16, v[10:11]
; %bb.34:                               ;   in Loop: Header=BB12_29 Depth=1
	s_andn2_saveexec_b64 s[0:1], s[0:1]
; %bb.35:                               ;   in Loop: Header=BB12_29 Depth=1
	v_bfe_u32 v2, v10, 23, 1
; %bb.36:                               ;   in Loop: Header=BB12_29 Depth=1
	s_or_b64 exec, exec, s[0:1]
	v_lshrrev_b64 v[10:11], 20, v[10:11]
	v_cmp_gt_i32_e32 vcc, 16, v2
	v_cndmask_b32_e32 v11, 0, v11, vcc
	v_cndmask_b32_e32 v10, 7, v10, vcc
	v_cmp_ne_u32_e32 vcc, 0, v2
	v_cmp_ne_u64_e64 s[0:1], 0, v[10:11]
	s_or_b64 s[0:1], vcc, s[0:1]
                                        ; implicit-def: $vgpr11
	s_and_saveexec_b64 s[28:29], s[0:1]
	s_xor_b64 s[0:1], exec, s[28:29]
; %bb.37:                               ;   in Loop: Header=BB12_29 Depth=1
	v_min_i32_e32 v2, 15, v2
	v_lshl_or_b32 v2, v2, 3, v15
	v_and_or_b32 v11, v10, 7, v2
                                        ; implicit-def: $vgpr15
; %bb.38:                               ;   in Loop: Header=BB12_29 Depth=1
	s_andn2_saveexec_b64 s[0:1], s[0:1]
; %bb.39:                               ;   in Loop: Header=BB12_29 Depth=1
	v_mov_b32_e32 v11, v15
; %bb.40:                               ;   in Loop: Header=BB12_29 Depth=1
	s_or_b64 exec, exec, s[0:1]
.LBB12_41:                              ;   in Loop: Header=BB12_29 Depth=1
	s_or_b64 exec, exec, s[16:17]
.LBB12_42:                              ;   in Loop: Header=BB12_29 Depth=1
	s_andn2_saveexec_b64 s[0:1], s[14:15]
	s_or_b64 exec, exec, s[0:1]
                                        ; implicit-def: $vgpr10
.LBB12_43:                              ;   in Loop: Header=BB12_29 Depth=1
	s_andn2_saveexec_b64 s[0:1], s[12:13]
; %bb.44:                               ;   in Loop: Header=BB12_29 Depth=1
	v_or_b32_sdwa v10, v10, s26 dst_sel:DWORD dst_unused:UNUSED_PAD src0_sel:BYTE_3 src1_sel:DWORD
	v_cmp_eq_u64_e32 vcc, 0, v[2:3]
	v_cndmask_b32_e32 v11, v10, v11, vcc
; %bb.45:                               ;   in Loop: Header=BB12_29 Depth=1
	s_or_b64 exec, exec, s[0:1]
	v_fma_mixlo_f16 v2, v1, v6, 0 op_sel:[0,1,0] op_sel_hi:[0,1,0]
	v_mul_f16_sdwa v2, v8, v2 dst_sel:DWORD dst_unused:UNUSED_PAD src0_sel:WORD_1 src1_sel:DWORD
	v_cvt_f32_f16_e32 v2, v2
	v_mov_b32_e32 v17, v3
	global_store_byte v5, v11, s[2:3]
	v_mul_f32_e32 v2, v12, v2
	v_min_f32_e32 v2, 0x43e00000, v2
	v_max_f32_e32 v10, 0xc3e00000, v2
	v_and_b32_sdwa v6, v10, s24 dst_sel:DWORD dst_unused:UNUSED_PAD src0_sel:BYTE_3 src1_sel:DWORD
	v_and_b32_e32 v16, 0x7f800000, v10
	v_and_b32_e32 v2, 0x7fffff, v10
	v_or_b32_e32 v8, 0x7e, v6
	v_cmp_ne_u64_e32 vcc, s[6:7], v[16:17]
	s_and_saveexec_b64 s[0:1], vcc
	s_xor_b64 s[12:13], exec, s[0:1]
	s_cbranch_execz .LBB12_59
; %bb.46:                               ;   in Loop: Header=BB12_29 Depth=1
	v_and_b32_e32 v16, 0x7fffffff, v10
	v_mov_b32_e32 v17, v3
	v_cmp_gt_u64_e32 vcc, s[10:11], v[16:17]
	s_and_saveexec_b64 s[0:1], vcc
	s_xor_b64 s[14:15], exec, s[0:1]
	s_cbranch_execz .LBB12_58
; %bb.47:                               ;   in Loop: Header=BB12_29 Depth=1
	v_cmp_ne_u32_e32 vcc, 0, v10
	v_mov_b32_e32 v8, 0
	s_and_saveexec_b64 s[16:17], vcc
	s_cbranch_execz .LBB12_57
; %bb.48:                               ;   in Loop: Header=BB12_29 Depth=1
	v_bfe_u32 v8, v10, 23, 8
	v_sub_u32_e64 v10, s25, v8 clamp
	v_cmp_eq_u32_e32 vcc, 0, v8
	v_add_u32_e32 v15, 0xffffff88, v8
	v_cndmask_b32_e32 v8, v10, v13, vcc
	v_or_b32_e32 v11, 0x800000, v2
	v_add_u32_e32 v10, 20, v8
	v_cndmask_b32_e32 v2, v11, v2, vcc
	v_lshlrev_b64 v[10:11], v10, -1
	v_not_b32_e32 v11, v11
	v_not_b32_e32 v10, v10
	v_add_u32_e32 v16, 19, v8
	v_and_b32_e32 v11, 0, v11
	v_and_b32_e32 v10, v2, v10
	v_lshlrev_b64 v[16:17], v16, 1
	v_cmp_eq_u64_e64 s[0:1], v[10:11], v[16:17]
	v_lshrrev_b64 v[10:11], v8, v[2:3]
	v_cndmask_b32_e32 v2, v15, v14, vcc
	v_lshrrev_b32_e32 v15, 23, v10
	v_add3_u32 v8, v2, v8, v15
	v_and_b32_e32 v2, 0x100000, v10
	v_cmp_eq_u64_e32 vcc, 0, v[2:3]
	s_and_b64 vcc, vcc, s[0:1]
	v_subbrev_co_u32_e32 v2, vcc, 0, v10, vcc
	v_and_b32_e32 v2, 0xfffff, v2
	v_add_co_u32_e32 v10, vcc, v2, v10
	v_add_u32_e32 v15, -1, v8
	v_addc_co_u32_e32 v11, vcc, 0, v11, vcc
	v_cmp_ne_u32_e32 vcc, 0, v15
                                        ; implicit-def: $vgpr2
	s_and_saveexec_b64 s[0:1], vcc
	s_xor_b64 s[0:1], exec, s[0:1]
; %bb.49:                               ;   in Loop: Header=BB12_29 Depth=1
	v_and_b32_e32 v2, 0x1000000, v10
	v_cmp_eq_u64_e32 vcc, 0, v[2:3]
	v_cndmask_b32_e32 v2, v8, v15, vcc
	v_bfe_u32 v8, v10, 24, 1
	v_lshrrev_b64 v[10:11], v8, v[10:11]
; %bb.50:                               ;   in Loop: Header=BB12_29 Depth=1
	s_andn2_saveexec_b64 s[0:1], s[0:1]
; %bb.51:                               ;   in Loop: Header=BB12_29 Depth=1
	v_bfe_u32 v2, v10, 23, 1
; %bb.52:                               ;   in Loop: Header=BB12_29 Depth=1
	s_or_b64 exec, exec, s[0:1]
	v_lshrrev_b64 v[10:11], 20, v[10:11]
	v_cmp_gt_i32_e32 vcc, 16, v2
	v_cndmask_b32_e32 v11, 0, v11, vcc
	v_cndmask_b32_e32 v10, 7, v10, vcc
	v_cmp_ne_u32_e32 vcc, 0, v2
	v_cmp_ne_u64_e64 s[0:1], 0, v[10:11]
	s_or_b64 s[0:1], vcc, s[0:1]
                                        ; implicit-def: $vgpr8
	s_and_saveexec_b64 s[28:29], s[0:1]
	s_xor_b64 s[0:1], exec, s[28:29]
; %bb.53:                               ;   in Loop: Header=BB12_29 Depth=1
	v_min_i32_e32 v2, 15, v2
	v_lshl_or_b32 v2, v2, 3, v6
	v_and_or_b32 v8, v10, 7, v2
                                        ; implicit-def: $vgpr6
; %bb.54:                               ;   in Loop: Header=BB12_29 Depth=1
	s_andn2_saveexec_b64 s[0:1], s[0:1]
; %bb.55:                               ;   in Loop: Header=BB12_29 Depth=1
	v_mov_b32_e32 v8, v6
; %bb.56:                               ;   in Loop: Header=BB12_29 Depth=1
	s_or_b64 exec, exec, s[0:1]
.LBB12_57:                              ;   in Loop: Header=BB12_29 Depth=1
	s_or_b64 exec, exec, s[16:17]
.LBB12_58:                              ;   in Loop: Header=BB12_29 Depth=1
	s_andn2_saveexec_b64 s[0:1], s[14:15]
	s_or_b64 exec, exec, s[0:1]
                                        ; implicit-def: $vgpr10
.LBB12_59:                              ;   in Loop: Header=BB12_29 Depth=1
	s_andn2_saveexec_b64 s[0:1], s[12:13]
; %bb.60:                               ;   in Loop: Header=BB12_29 Depth=1
	v_or_b32_sdwa v6, v10, s26 dst_sel:DWORD dst_unused:UNUSED_PAD src0_sel:BYTE_3 src1_sel:DWORD
	v_cmp_eq_u64_e32 vcc, 0, v[2:3]
	v_cndmask_b32_e32 v8, v6, v8, vcc
; %bb.61:                               ;   in Loop: Header=BB12_29 Depth=1
	s_or_b64 exec, exec, s[0:1]
	v_fma_mixlo_f16 v2, v1, v7, 0 op_sel_hi:[0,1,0]
	v_mul_f16_e32 v2, v9, v2
	v_cvt_f32_f16_e32 v2, v2
	v_add_u32_e32 v6, 1, v5
	global_store_byte v6, v8, s[2:3]
	v_mov_b32_e32 v17, v3
	v_mul_f32_e32 v2, v12, v2
	v_min_f32_e32 v2, 0x43e00000, v2
	v_max_f32_e32 v10, 0xc3e00000, v2
	v_and_b32_sdwa v6, v10, s24 dst_sel:DWORD dst_unused:UNUSED_PAD src0_sel:BYTE_3 src1_sel:DWORD
	v_and_b32_e32 v16, 0x7f800000, v10
	v_and_b32_e32 v2, 0x7fffff, v10
	v_or_b32_e32 v8, 0x7e, v6
	v_cmp_ne_u64_e32 vcc, s[6:7], v[16:17]
	s_and_saveexec_b64 s[0:1], vcc
	s_xor_b64 s[12:13], exec, s[0:1]
	s_cbranch_execz .LBB12_75
; %bb.62:                               ;   in Loop: Header=BB12_29 Depth=1
	v_and_b32_e32 v16, 0x7fffffff, v10
	v_mov_b32_e32 v17, v3
	v_cmp_gt_u64_e32 vcc, s[10:11], v[16:17]
	s_and_saveexec_b64 s[0:1], vcc
	s_xor_b64 s[14:15], exec, s[0:1]
	s_cbranch_execz .LBB12_74
; %bb.63:                               ;   in Loop: Header=BB12_29 Depth=1
	v_cmp_ne_u32_e32 vcc, 0, v10
	v_mov_b32_e32 v8, 0
	s_and_saveexec_b64 s[16:17], vcc
	s_cbranch_execz .LBB12_73
; %bb.64:                               ;   in Loop: Header=BB12_29 Depth=1
	v_bfe_u32 v8, v10, 23, 8
	v_sub_u32_e64 v10, s25, v8 clamp
	v_cmp_eq_u32_e32 vcc, 0, v8
	v_add_u32_e32 v15, 0xffffff88, v8
	v_cndmask_b32_e32 v8, v10, v13, vcc
	v_or_b32_e32 v11, 0x800000, v2
	v_add_u32_e32 v10, 20, v8
	v_cndmask_b32_e32 v2, v11, v2, vcc
	v_lshlrev_b64 v[10:11], v10, -1
	v_not_b32_e32 v11, v11
	v_not_b32_e32 v10, v10
	v_add_u32_e32 v16, 19, v8
	v_and_b32_e32 v11, 0, v11
	v_and_b32_e32 v10, v2, v10
	v_lshlrev_b64 v[16:17], v16, 1
	v_cmp_eq_u64_e64 s[0:1], v[10:11], v[16:17]
	v_lshrrev_b64 v[10:11], v8, v[2:3]
	v_cndmask_b32_e32 v2, v15, v14, vcc
	v_lshrrev_b32_e32 v15, 23, v10
	v_add3_u32 v8, v2, v8, v15
	v_and_b32_e32 v2, 0x100000, v10
	v_cmp_eq_u64_e32 vcc, 0, v[2:3]
	s_and_b64 vcc, vcc, s[0:1]
	v_subbrev_co_u32_e32 v2, vcc, 0, v10, vcc
	v_and_b32_e32 v2, 0xfffff, v2
	v_add_co_u32_e32 v10, vcc, v2, v10
	v_add_u32_e32 v15, -1, v8
	v_addc_co_u32_e32 v11, vcc, 0, v11, vcc
	v_cmp_ne_u32_e32 vcc, 0, v15
                                        ; implicit-def: $vgpr2
	s_and_saveexec_b64 s[0:1], vcc
	s_xor_b64 s[0:1], exec, s[0:1]
; %bb.65:                               ;   in Loop: Header=BB12_29 Depth=1
	v_and_b32_e32 v2, 0x1000000, v10
	v_cmp_eq_u64_e32 vcc, 0, v[2:3]
	v_cndmask_b32_e32 v2, v8, v15, vcc
	v_bfe_u32 v8, v10, 24, 1
	v_lshrrev_b64 v[10:11], v8, v[10:11]
; %bb.66:                               ;   in Loop: Header=BB12_29 Depth=1
	s_andn2_saveexec_b64 s[0:1], s[0:1]
; %bb.67:                               ;   in Loop: Header=BB12_29 Depth=1
	v_bfe_u32 v2, v10, 23, 1
; %bb.68:                               ;   in Loop: Header=BB12_29 Depth=1
	s_or_b64 exec, exec, s[0:1]
	v_lshrrev_b64 v[10:11], 20, v[10:11]
	v_cmp_gt_i32_e32 vcc, 16, v2
	v_cndmask_b32_e32 v11, 0, v11, vcc
	v_cndmask_b32_e32 v10, 7, v10, vcc
	v_cmp_ne_u32_e32 vcc, 0, v2
	v_cmp_ne_u64_e64 s[0:1], 0, v[10:11]
	s_or_b64 s[0:1], vcc, s[0:1]
                                        ; implicit-def: $vgpr8
	s_and_saveexec_b64 s[28:29], s[0:1]
	s_xor_b64 s[0:1], exec, s[28:29]
; %bb.69:                               ;   in Loop: Header=BB12_29 Depth=1
	v_min_i32_e32 v2, 15, v2
	v_lshl_or_b32 v2, v2, 3, v6
	v_and_or_b32 v8, v10, 7, v2
                                        ; implicit-def: $vgpr6
; %bb.70:                               ;   in Loop: Header=BB12_29 Depth=1
	s_andn2_saveexec_b64 s[0:1], s[0:1]
; %bb.71:                               ;   in Loop: Header=BB12_29 Depth=1
	v_mov_b32_e32 v8, v6
; %bb.72:                               ;   in Loop: Header=BB12_29 Depth=1
	s_or_b64 exec, exec, s[0:1]
.LBB12_73:                              ;   in Loop: Header=BB12_29 Depth=1
	s_or_b64 exec, exec, s[16:17]
.LBB12_74:                              ;   in Loop: Header=BB12_29 Depth=1
	s_andn2_saveexec_b64 s[0:1], s[14:15]
	s_or_b64 exec, exec, s[0:1]
                                        ; implicit-def: $vgpr10
.LBB12_75:                              ;   in Loop: Header=BB12_29 Depth=1
	s_andn2_saveexec_b64 s[0:1], s[12:13]
; %bb.76:                               ;   in Loop: Header=BB12_29 Depth=1
	v_or_b32_sdwa v6, v10, s26 dst_sel:DWORD dst_unused:UNUSED_PAD src0_sel:BYTE_3 src1_sel:DWORD
	v_cmp_eq_u64_e32 vcc, 0, v[2:3]
	v_cndmask_b32_e32 v8, v6, v8, vcc
; %bb.77:                               ;   in Loop: Header=BB12_29 Depth=1
	s_or_b64 exec, exec, s[0:1]
	v_fma_mixlo_f16 v2, v1, v7, 0 op_sel:[0,1,0] op_sel_hi:[0,1,0]
	v_mul_f16_sdwa v2, v9, v2 dst_sel:DWORD dst_unused:UNUSED_PAD src0_sel:WORD_1 src1_sel:DWORD
	v_cvt_f32_f16_e32 v2, v2
	v_add_u32_e32 v6, 2, v5
	global_store_byte v6, v8, s[2:3]
	v_mov_b32_e32 v11, v3
	v_mul_f32_e32 v2, v12, v2
	v_min_f32_e32 v2, 0x43e00000, v2
	v_max_f32_e32 v6, 0xc3e00000, v2
	v_and_b32_sdwa v8, v6, s24 dst_sel:DWORD dst_unused:UNUSED_PAD src0_sel:BYTE_3 src1_sel:DWORD
	v_and_b32_e32 v10, 0x7f800000, v6
	v_and_b32_e32 v2, 0x7fffff, v6
	v_or_b32_e32 v7, 0x7e, v8
	v_cmp_ne_u64_e32 vcc, s[6:7], v[10:11]
	s_and_saveexec_b64 s[0:1], vcc
	s_xor_b64 s[12:13], exec, s[0:1]
	s_cbranch_execz .LBB12_91
; %bb.78:                               ;   in Loop: Header=BB12_29 Depth=1
	v_and_b32_e32 v10, 0x7fffffff, v6
	v_mov_b32_e32 v11, v3
	v_cmp_gt_u64_e32 vcc, s[10:11], v[10:11]
	s_and_saveexec_b64 s[0:1], vcc
	s_xor_b64 s[14:15], exec, s[0:1]
	s_cbranch_execz .LBB12_90
; %bb.79:                               ;   in Loop: Header=BB12_29 Depth=1
	v_cmp_ne_u32_e32 vcc, 0, v6
	v_mov_b32_e32 v7, 0
	s_and_saveexec_b64 s[16:17], vcc
	s_cbranch_execz .LBB12_89
; %bb.80:                               ;   in Loop: Header=BB12_29 Depth=1
	v_bfe_u32 v6, v6, 23, 8
	v_sub_u32_e64 v7, s25, v6 clamp
	v_cmp_eq_u32_e32 vcc, 0, v6
	v_cndmask_b32_e32 v16, v7, v13, vcc
	v_add_u32_e32 v15, 0xffffff88, v6
	v_add_u32_e32 v6, 20, v16
	v_or_b32_e32 v9, 0x800000, v2
	v_lshlrev_b64 v[6:7], v6, -1
	v_cndmask_b32_e32 v2, v9, v2, vcc
	v_not_b32_e32 v7, v7
	v_not_b32_e32 v6, v6
	v_add_u32_e32 v9, 19, v16
	v_and_b32_e32 v7, 0, v7
	v_and_b32_e32 v6, v2, v6
	v_lshlrev_b64 v[10:11], v9, 1
	v_cmp_eq_u64_e64 s[0:1], v[6:7], v[10:11]
	v_lshrrev_b64 v[6:7], v16, v[2:3]
	v_cndmask_b32_e32 v2, v15, v14, vcc
	v_lshrrev_b32_e32 v9, 23, v6
	v_add3_u32 v9, v2, v16, v9
	v_and_b32_e32 v2, 0x100000, v6
	v_cmp_eq_u64_e32 vcc, 0, v[2:3]
	s_and_b64 vcc, vcc, s[0:1]
	v_subbrev_co_u32_e32 v2, vcc, 0, v6, vcc
	v_and_b32_e32 v2, 0xfffff, v2
	v_add_co_u32_e32 v6, vcc, v2, v6
	v_add_u32_e32 v10, -1, v9
	v_addc_co_u32_e32 v7, vcc, 0, v7, vcc
	v_cmp_ne_u32_e32 vcc, 0, v10
                                        ; implicit-def: $vgpr2
	s_and_saveexec_b64 s[0:1], vcc
	s_xor_b64 s[0:1], exec, s[0:1]
; %bb.81:                               ;   in Loop: Header=BB12_29 Depth=1
	v_and_b32_e32 v2, 0x1000000, v6
	v_cmp_eq_u64_e32 vcc, 0, v[2:3]
	v_cndmask_b32_e32 v2, v9, v10, vcc
	v_bfe_u32 v9, v6, 24, 1
	v_lshrrev_b64 v[6:7], v9, v[6:7]
; %bb.82:                               ;   in Loop: Header=BB12_29 Depth=1
	s_andn2_saveexec_b64 s[0:1], s[0:1]
; %bb.83:                               ;   in Loop: Header=BB12_29 Depth=1
	v_bfe_u32 v2, v6, 23, 1
; %bb.84:                               ;   in Loop: Header=BB12_29 Depth=1
	s_or_b64 exec, exec, s[0:1]
	v_lshrrev_b64 v[6:7], 20, v[6:7]
	v_cmp_gt_i32_e32 vcc, 16, v2
	v_cndmask_b32_e32 v7, 0, v7, vcc
	v_cndmask_b32_e32 v6, 7, v6, vcc
	v_cmp_ne_u32_e32 vcc, 0, v2
	v_cmp_ne_u64_e64 s[0:1], 0, v[6:7]
	s_or_b64 s[0:1], vcc, s[0:1]
                                        ; implicit-def: $vgpr7
	s_and_saveexec_b64 s[28:29], s[0:1]
	s_xor_b64 s[0:1], exec, s[28:29]
; %bb.85:                               ;   in Loop: Header=BB12_29 Depth=1
	v_min_i32_e32 v2, 15, v2
	v_lshl_or_b32 v2, v2, 3, v8
	v_and_or_b32 v7, v6, 7, v2
                                        ; implicit-def: $vgpr8
; %bb.86:                               ;   in Loop: Header=BB12_29 Depth=1
	s_andn2_saveexec_b64 s[0:1], s[0:1]
; %bb.87:                               ;   in Loop: Header=BB12_29 Depth=1
	v_mov_b32_e32 v7, v8
; %bb.88:                               ;   in Loop: Header=BB12_29 Depth=1
	s_or_b64 exec, exec, s[0:1]
.LBB12_89:                              ;   in Loop: Header=BB12_29 Depth=1
	s_or_b64 exec, exec, s[16:17]
.LBB12_90:                              ;   in Loop: Header=BB12_29 Depth=1
	s_andn2_saveexec_b64 s[0:1], s[14:15]
	s_or_b64 exec, exec, s[0:1]
                                        ; implicit-def: $vgpr6
.LBB12_91:                              ;   in Loop: Header=BB12_29 Depth=1
	s_andn2_saveexec_b64 s[0:1], s[12:13]
	s_cbranch_execz .LBB12_28
; %bb.92:                               ;   in Loop: Header=BB12_29 Depth=1
	v_or_b32_sdwa v6, v6, s26 dst_sel:DWORD dst_unused:UNUSED_PAD src0_sel:BYTE_3 src1_sel:DWORD
	v_cmp_eq_u64_e32 vcc, 0, v[2:3]
	v_cndmask_b32_e32 v7, v6, v7, vcc
	s_branch .LBB12_28
.LBB12_93:
	s_endpgm
	.section	.rodata,"a",@progbits
	.p2align	6, 0x0
	.amdhsa_kernel _ZN4vllm32rms_norm_static_fp8_quant_kernelIN3c104HalfENS1_13Float8_e4m3fnELi4EEEvPT0_PKT_iS8_PKffii
		.amdhsa_group_segment_fixed_size 68
		.amdhsa_private_segment_fixed_size 0
		.amdhsa_kernarg_size 312
		.amdhsa_user_sgpr_count 6
		.amdhsa_user_sgpr_private_segment_buffer 1
		.amdhsa_user_sgpr_dispatch_ptr 0
		.amdhsa_user_sgpr_queue_ptr 0
		.amdhsa_user_sgpr_kernarg_segment_ptr 1
		.amdhsa_user_sgpr_dispatch_id 0
		.amdhsa_user_sgpr_flat_scratch_init 0
		.amdhsa_user_sgpr_kernarg_preload_length 0
		.amdhsa_user_sgpr_kernarg_preload_offset 0
		.amdhsa_user_sgpr_private_segment_size 0
		.amdhsa_uses_dynamic_stack 0
		.amdhsa_system_sgpr_private_segment_wavefront_offset 0
		.amdhsa_system_sgpr_workgroup_id_x 1
		.amdhsa_system_sgpr_workgroup_id_y 0
		.amdhsa_system_sgpr_workgroup_id_z 0
		.amdhsa_system_sgpr_workgroup_info 0
		.amdhsa_system_vgpr_workitem_id 0
		.amdhsa_next_free_vgpr 20
		.amdhsa_next_free_sgpr 30
		.amdhsa_accum_offset 20
		.amdhsa_reserve_vcc 1
		.amdhsa_reserve_flat_scratch 0
		.amdhsa_float_round_mode_32 0
		.amdhsa_float_round_mode_16_64 0
		.amdhsa_float_denorm_mode_32 3
		.amdhsa_float_denorm_mode_16_64 3
		.amdhsa_dx10_clamp 1
		.amdhsa_ieee_mode 1
		.amdhsa_fp16_overflow 0
		.amdhsa_tg_split 0
		.amdhsa_exception_fp_ieee_invalid_op 0
		.amdhsa_exception_fp_denorm_src 0
		.amdhsa_exception_fp_ieee_div_zero 0
		.amdhsa_exception_fp_ieee_overflow 0
		.amdhsa_exception_fp_ieee_underflow 0
		.amdhsa_exception_fp_ieee_inexact 0
		.amdhsa_exception_int_div_zero 0
	.end_amdhsa_kernel
	.section	.text._ZN4vllm32rms_norm_static_fp8_quant_kernelIN3c104HalfENS1_13Float8_e4m3fnELi4EEEvPT0_PKT_iS8_PKffii,"axG",@progbits,_ZN4vllm32rms_norm_static_fp8_quant_kernelIN3c104HalfENS1_13Float8_e4m3fnELi4EEEvPT0_PKT_iS8_PKffii,comdat
.Lfunc_end12:
	.size	_ZN4vllm32rms_norm_static_fp8_quant_kernelIN3c104HalfENS1_13Float8_e4m3fnELi4EEEvPT0_PKT_iS8_PKffii, .Lfunc_end12-_ZN4vllm32rms_norm_static_fp8_quant_kernelIN3c104HalfENS1_13Float8_e4m3fnELi4EEEvPT0_PKT_iS8_PKffii
                                        ; -- End function
	.section	.AMDGPU.csdata,"",@progbits
; Kernel info:
; codeLenInByte = 3752
; NumSgprs: 34
; NumVgprs: 20
; NumAgprs: 0
; TotalNumVgprs: 20
; ScratchSize: 0
; MemoryBound: 0
; FloatMode: 240
; IeeeMode: 1
; LDSByteSize: 68 bytes/workgroup (compile time only)
; SGPRBlocks: 4
; VGPRBlocks: 2
; NumSGPRsForWavesPerEU: 34
; NumVGPRsForWavesPerEU: 20
; AccumOffset: 20
; Occupancy: 8
; WaveLimiterHint : 0
; COMPUTE_PGM_RSRC2:SCRATCH_EN: 0
; COMPUTE_PGM_RSRC2:USER_SGPR: 6
; COMPUTE_PGM_RSRC2:TRAP_HANDLER: 0
; COMPUTE_PGM_RSRC2:TGID_X_EN: 1
; COMPUTE_PGM_RSRC2:TGID_Y_EN: 0
; COMPUTE_PGM_RSRC2:TGID_Z_EN: 0
; COMPUTE_PGM_RSRC2:TIDIG_COMP_CNT: 0
; COMPUTE_PGM_RSRC3_GFX90A:ACCUM_OFFSET: 4
; COMPUTE_PGM_RSRC3_GFX90A:TG_SPLIT: 0
	.section	.text._ZN4vllm32rms_norm_static_fp8_quant_kernelIN3c104HalfENS1_13Float8_e4m3fnELi2EEEvPT0_PKT_iS8_PKffii,"axG",@progbits,_ZN4vllm32rms_norm_static_fp8_quant_kernelIN3c104HalfENS1_13Float8_e4m3fnELi2EEEvPT0_PKT_iS8_PKffii,comdat
	.protected	_ZN4vllm32rms_norm_static_fp8_quant_kernelIN3c104HalfENS1_13Float8_e4m3fnELi2EEEvPT0_PKT_iS8_PKffii ; -- Begin function _ZN4vllm32rms_norm_static_fp8_quant_kernelIN3c104HalfENS1_13Float8_e4m3fnELi2EEEvPT0_PKT_iS8_PKffii
	.globl	_ZN4vllm32rms_norm_static_fp8_quant_kernelIN3c104HalfENS1_13Float8_e4m3fnELi2EEEvPT0_PKT_iS8_PKffii
	.p2align	8
	.type	_ZN4vllm32rms_norm_static_fp8_quant_kernelIN3c104HalfENS1_13Float8_e4m3fnELi2EEEvPT0_PKT_iS8_PKffii,@function
_ZN4vllm32rms_norm_static_fp8_quant_kernelIN3c104HalfENS1_13Float8_e4m3fnELi2EEEvPT0_PKT_iS8_PKffii: ; @_ZN4vllm32rms_norm_static_fp8_quant_kernelIN3c104HalfENS1_13Float8_e4m3fnELi2EEEvPT0_PKT_iS8_PKffii
; %bb.0:
	s_load_dword s2, s[4:5], 0x10
	s_load_dwordx2 s[0:1], s[4:5], 0x8
	s_load_dword s7, s[4:5], 0x30
	s_load_dword s12, s[4:5], 0x44
	s_mov_b32 s11, 0
	s_waitcnt lgkmcnt(0)
	s_mul_i32 s10, s6, s2
	s_lshl_b64 s[8:9], s[10:11], 1
	s_add_u32 s2, s0, s8
	s_addc_u32 s3, s1, s9
	s_and_b32 s20, s12, 0xffff
	s_and_b32 s10, s2, 3
	s_cmp_lg_u64 s[10:11], 0
	s_cselect_b64 s[10:11], -1, 0
	s_bitcmp1_b32 s7, 0
	s_cselect_b64 s[12:13], -1, 0
	s_or_b64 s[10:11], s[10:11], s[12:13]
	s_and_b64 vcc, exec, s[10:11]
	s_cbranch_vccz .LBB13_13
; %bb.1:
	s_sub_i32 s10, 0, s2
	s_bfe_u32 s10, s10, 0x10001
	s_min_i32 s10, s10, s7
	v_cmp_gt_i32_e32 vcc, s10, v0
	v_mov_b32_e32 v1, 0
	s_and_saveexec_b64 s[12:13], vcc
	s_cbranch_execz .LBB13_4
; %bb.2:
	s_lshl_b32 s11, s20, 1
	s_mov_b32 s16, 0
	v_mov_b32_e32 v2, 0
	s_mov_b64 s[14:15], s[2:3]
	v_mov_b32_e32 v1, 0
.LBB13_3:                               ; =>This Inner Loop Header: Depth=1
	global_load_ushort v3, v2, s[14:15]
	s_add_i32 s16, s16, s20
	s_add_u32 s14, s14, s11
	s_addc_u32 s15, s15, 0
	s_cmp_ge_i32 s16, s10
	s_waitcnt vmcnt(0)
	v_fma_mix_f32 v1, v3, v3, v1 op_sel_hi:[1,1,0]
	s_cbranch_scc0 .LBB13_3
.LBB13_4:
	s_or_b64 exec, exec, s[12:13]
	s_sub_i32 s16, s7, s10
	s_lshr_b32 s12, s16, 31
	s_add_i32 s12, s16, s12
	s_ashr_i32 s17, s12, 1
	s_ashr_i32 s11, s10, 31
	v_cmp_gt_i32_e32 vcc, s17, v0
	s_and_saveexec_b64 s[12:13], vcc
	s_cbranch_execz .LBB13_8
; %bb.5:
	s_lshl_b64 s[14:15], s[10:11], 1
	s_add_u32 s18, s0, s8
	s_addc_u32 s21, s1, s9
	s_add_u32 s14, s18, s14
	v_lshlrev_b32_e32 v2, 2, v0
	s_addc_u32 s15, s21, s15
	v_mov_b32_e32 v3, s15
	v_add_co_u32_e32 v2, vcc, s14, v2
	v_addc_co_u32_e32 v3, vcc, 0, v3, vcc
	s_mov_b32 s19, 0
	v_add_co_u32_e32 v2, vcc, 2, v2
	v_addc_co_u32_e32 v3, vcc, 0, v3, vcc
	s_lshl_b32 s18, s20, 2
	s_mov_b64 s[14:15], 0
	v_mov_b32_e32 v4, s19
	v_mov_b32_e32 v5, v0
.LBB13_6:                               ; =>This Inner Loop Header: Depth=1
	global_load_dword v6, v[2:3], off offset:-2
	v_add_co_u32_e32 v2, vcc, s18, v2
	v_add_u32_e32 v5, s20, v5
	v_addc_co_u32_e32 v3, vcc, v3, v4, vcc
	v_cmp_le_i32_e32 vcc, s17, v5
	s_or_b64 s[14:15], vcc, s[14:15]
	s_waitcnt vmcnt(0)
	v_fma_mix_f32 v1, v6, v6, v1 op_sel_hi:[1,1,0]
	v_fma_mix_f32 v1, v6, v6, v1 op_sel:[1,1,0] op_sel_hi:[1,1,0]
	s_andn2_b64 exec, exec, s[14:15]
	s_cbranch_execnz .LBB13_6
; %bb.7:
	s_or_b64 exec, exec, s[14:15]
.LBB13_8:
	s_or_b64 exec, exec, s[12:13]
	v_lshl_add_u32 v2, s17, 1, v0
	v_cmp_gt_i32_e32 vcc, s16, v2
	s_and_saveexec_b64 s[12:13], vcc
	s_cbranch_execz .LBB13_12
; %bb.9:
	s_lshl_b64 s[10:11], s[10:11], 1
	s_add_u32 s14, s0, s8
	s_addc_u32 s15, s1, s9
	v_ashrrev_i32_e32 v3, 31, v2
	s_add_u32 s10, s14, s10
	v_lshlrev_b64 v[4:5], 1, v[2:3]
	s_addc_u32 s11, s15, s11
	v_mov_b32_e32 v3, s11
	v_add_co_u32_e32 v4, vcc, s10, v4
	s_mov_b32 s15, 0
	v_addc_co_u32_e32 v5, vcc, v3, v5, vcc
	s_lshl_b32 s14, s20, 1
	s_mov_b64 s[10:11], 0
	v_mov_b32_e32 v3, s15
.LBB13_10:                              ; =>This Inner Loop Header: Depth=1
	global_load_ushort v6, v[4:5], off
	v_add_co_u32_e32 v4, vcc, s14, v4
	v_add_u32_e32 v2, s20, v2
	v_addc_co_u32_e32 v5, vcc, v5, v3, vcc
	v_cmp_le_i32_e32 vcc, s16, v2
	s_or_b64 s[10:11], vcc, s[10:11]
	s_waitcnt vmcnt(0)
	v_fma_mix_f32 v1, v6, v6, v1 op_sel_hi:[1,1,0]
	s_andn2_b64 exec, exec, s[10:11]
	s_cbranch_execnz .LBB13_10
; %bb.11:
	s_or_b64 exec, exec, s[10:11]
.LBB13_12:
	s_or_b64 exec, exec, s[12:13]
	s_branch .LBB13_19
.LBB13_13:
                                        ; implicit-def: $vgpr1
	s_cbranch_execz .LBB13_19
; %bb.14:
	s_ashr_i32 s12, s7, 1
	v_cmp_gt_i32_e32 vcc, s12, v0
	v_mov_b32_e32 v1, 0
	s_and_saveexec_b64 s[10:11], vcc
	s_cbranch_execz .LBB13_18
; %bb.15:
	s_add_u32 s0, s0, s8
	v_lshlrev_b32_e32 v1, 2, v0
	s_addc_u32 s1, s1, s9
	v_mov_b32_e32 v2, s1
	v_add_co_u32_e32 v1, vcc, s0, v1
	v_addc_co_u32_e32 v3, vcc, 0, v2, vcc
	s_mov_b32 s13, 0
	v_add_co_u32_e32 v2, vcc, 2, v1
	v_addc_co_u32_e32 v3, vcc, 0, v3, vcc
	s_lshl_b32 s8, s20, 2
	s_mov_b64 s[0:1], 0
	v_mov_b32_e32 v1, 0
	v_mov_b32_e32 v4, s13
	;; [unrolled: 1-line block ×3, first 2 shown]
.LBB13_16:                              ; =>This Inner Loop Header: Depth=1
	global_load_dword v6, v[2:3], off offset:-2
	v_add_co_u32_e32 v2, vcc, s8, v2
	v_add_u32_e32 v5, s20, v5
	v_addc_co_u32_e32 v3, vcc, v3, v4, vcc
	v_cmp_le_i32_e32 vcc, s12, v5
	s_or_b64 s[0:1], vcc, s[0:1]
	s_waitcnt vmcnt(0)
	v_fma_mix_f32 v1, v6, v6, v1 op_sel_hi:[1,1,0]
	v_fma_mix_f32 v1, v6, v6, v1 op_sel:[1,1,0] op_sel_hi:[1,1,0]
	s_andn2_b64 exec, exec, s[0:1]
	s_cbranch_execnz .LBB13_16
; %bb.17:
	s_or_b64 exec, exec, s[0:1]
.LBB13_18:
	s_or_b64 exec, exec, s[10:11]
.LBB13_19:
	v_mbcnt_lo_u32_b32 v2, -1, 0
	v_mbcnt_hi_u32_b32 v2, -1, v2
	v_and_b32_e32 v3, 63, v2
	v_cmp_ne_u32_e32 vcc, 63, v3
	v_addc_co_u32_e32 v4, vcc, 0, v2, vcc
	v_lshlrev_b32_e32 v4, 2, v4
	ds_bpermute_b32 v4, v4, v1
	v_and_b32_e32 v5, 0x3c0, v0
	v_sub_u32_e64 v5, s20, v5 clamp
	v_add_u32_e32 v6, 1, v2
	v_cmp_lt_u32_e32 vcc, v6, v5
	s_waitcnt lgkmcnt(0)
	v_add_f32_e32 v4, v1, v4
	v_cndmask_b32_e32 v1, v1, v4, vcc
	v_cmp_gt_u32_e32 vcc, 62, v3
	v_cndmask_b32_e64 v4, 0, 1, vcc
	v_lshlrev_b32_e32 v4, 1, v4
	v_add_lshl_u32 v4, v4, v2, 2
	ds_bpermute_b32 v4, v4, v1
	v_add_u32_e32 v6, 2, v2
	v_cmp_lt_u32_e32 vcc, v6, v5
	v_add_u32_e32 v6, 4, v2
	s_waitcnt lgkmcnt(0)
	v_add_f32_e32 v4, v1, v4
	v_cndmask_b32_e32 v1, v1, v4, vcc
	v_cmp_gt_u32_e32 vcc, 60, v3
	v_cndmask_b32_e64 v4, 0, 1, vcc
	v_lshlrev_b32_e32 v4, 2, v4
	v_add_lshl_u32 v4, v4, v2, 2
	ds_bpermute_b32 v4, v4, v1
	v_cmp_lt_u32_e32 vcc, v6, v5
	v_add_u32_e32 v6, 8, v2
	s_waitcnt lgkmcnt(0)
	v_add_f32_e32 v4, v1, v4
	v_cndmask_b32_e32 v1, v1, v4, vcc
	v_cmp_gt_u32_e32 vcc, 56, v3
	v_cndmask_b32_e64 v4, 0, 1, vcc
	v_lshlrev_b32_e32 v4, 3, v4
	v_add_lshl_u32 v4, v4, v2, 2
	ds_bpermute_b32 v4, v4, v1
	;; [unrolled: 10-line block ×3, first 2 shown]
	v_cmp_lt_u32_e32 vcc, v6, v5
	s_waitcnt lgkmcnt(0)
	v_add_f32_e32 v4, v1, v4
	v_cndmask_b32_e32 v1, v1, v4, vcc
	v_cmp_gt_u32_e32 vcc, 32, v3
	v_cndmask_b32_e64 v3, 0, 1, vcc
	v_lshlrev_b32_e32 v3, 5, v3
	v_add_lshl_u32 v3, v3, v2, 2
	ds_bpermute_b32 v3, v3, v1
	v_add_u32_e32 v4, 32, v2
	v_cmp_lt_u32_e32 vcc, v4, v5
	s_waitcnt lgkmcnt(0)
	v_add_f32_e32 v3, v1, v3
	v_cndmask_b32_e32 v1, v1, v3, vcc
	v_cmp_eq_u32_e32 vcc, 0, v2
	s_and_saveexec_b64 s[0:1], vcc
	s_cbranch_execz .LBB13_21
; %bb.20:
	v_lshrrev_b32_e32 v3, 4, v0
	v_and_b32_e32 v3, 60, v3
	ds_write_b32 v3, v1
.LBB13_21:
	s_or_b64 exec, exec, s[0:1]
	v_cmp_gt_u32_e32 vcc, 16, v0
	s_waitcnt lgkmcnt(0)
	s_barrier
	s_and_saveexec_b64 s[8:9], vcc
	s_cbranch_execz .LBB13_23
; %bb.22:
	v_lshlrev_b32_e32 v1, 2, v2
	ds_read_b32 v1, v1
	v_and_b32_e32 v3, 15, v2
	v_cmp_ne_u32_e32 vcc, 15, v3
	v_addc_co_u32_e32 v4, vcc, 0, v2, vcc
	v_lshlrev_b32_e32 v4, 2, v4
	s_waitcnt lgkmcnt(0)
	ds_bpermute_b32 v4, v4, v1
	s_add_i32 s0, s20, 63
	s_lshr_b32 s10, s0, 6
	v_add_u32_e32 v5, 1, v3
	v_cmp_gt_u32_e64 s[0:1], 14, v3
	v_cmp_gt_u32_e32 vcc, s10, v5
	v_cndmask_b32_e64 v5, 0, 1, s[0:1]
	s_waitcnt lgkmcnt(0)
	v_add_f32_e32 v4, v1, v4
	v_lshlrev_b32_e32 v5, 1, v5
	v_cndmask_b32_e32 v4, v1, v4, vcc
	v_add_lshl_u32 v5, v5, v2, 2
	ds_bpermute_b32 v5, v5, v4
	v_add_u32_e32 v6, 2, v3
	v_cmp_gt_u32_e64 s[0:1], s10, v6
	v_add_u32_e32 v6, 4, v3
	s_waitcnt lgkmcnt(0)
	v_add_f32_e32 v5, v4, v5
	v_cndmask_b32_e64 v4, v4, v5, s[0:1]
	v_cmp_gt_u32_e64 s[0:1], 12, v3
	v_cndmask_b32_e64 v5, 0, 1, s[0:1]
	v_lshlrev_b32_e32 v5, 2, v5
	v_add_lshl_u32 v5, v5, v2, 2
	ds_bpermute_b32 v5, v5, v4
	v_cmp_gt_u32_e64 s[0:1], s10, v6
	s_waitcnt lgkmcnt(0)
	v_add_f32_e32 v5, v4, v5
	v_cndmask_b32_e64 v4, v4, v5, s[0:1]
	v_cmp_gt_u32_e64 s[0:1], 8, v3
	v_cndmask_b32_e64 v5, 0, 1, s[0:1]
	v_lshlrev_b32_e32 v5, 3, v5
	v_add_lshl_u32 v2, v5, v2, 2
	ds_bpermute_b32 v2, v2, v4
	v_add_u32_e32 v3, 8, v3
	v_cmp_gt_u32_e64 s[0:1], s10, v3
	s_waitcnt lgkmcnt(0)
	v_add_f32_e32 v2, v4, v2
	v_cndmask_b32_e64 v2, v4, v2, s[0:1]
	v_cndmask_b32_e32 v1, v1, v2, vcc
.LBB13_23:
	s_or_b64 exec, exec, s[8:9]
	v_cmp_eq_u32_e32 vcc, 0, v0
	s_and_saveexec_b64 s[0:1], vcc
	s_cbranch_execz .LBB13_25
; %bb.24:
	v_cvt_f32_i32_e32 v2, s7
	s_load_dword s10, s[4:5], 0x28
	v_div_scale_f32 v3, s[8:9], v2, v2, v1
	v_rcp_f32_e32 v4, v3
	v_div_scale_f32 v5, vcc, v1, v2, v1
	s_mov_b32 s8, 0x800000
	v_fma_f32 v6, -v3, v4, 1.0
	v_fmac_f32_e32 v4, v6, v4
	v_mul_f32_e32 v6, v5, v4
	v_fma_f32 v7, -v3, v6, v5
	v_fmac_f32_e32 v6, v7, v4
	v_fma_f32 v3, -v3, v6, v5
	v_div_fmas_f32 v3, v3, v4, v6
	v_div_fixup_f32 v1, v3, v2, v1
	s_waitcnt lgkmcnt(0)
	v_add_f32_e32 v1, s10, v1
	v_mul_f32_e32 v2, 0x4b800000, v1
	v_cmp_gt_f32_e32 vcc, s8, v1
	v_cndmask_b32_e32 v1, v1, v2, vcc
	v_rsq_f32_e32 v1, v1
	v_mul_f32_e32 v2, 0x45800000, v1
	v_cndmask_b32_e32 v1, v1, v2, vcc
	v_mov_b32_e32 v2, 0
	ds_write_b32 v2, v1 offset:64
.LBB13_25:
	s_or_b64 exec, exec, s[0:1]
	s_lshr_b32 s0, s7, 31
	s_add_i32 s0, s7, s0
	s_ashr_i32 s21, s0, 1
	v_cmp_gt_i32_e32 vcc, s21, v0
	s_waitcnt lgkmcnt(0)
	s_barrier
	s_and_saveexec_b64 s[0:1], vcc
	s_cbranch_execz .LBB13_60
; %bb.26:
	s_load_dwordx4 s[8:11], s[4:5], 0x18
	s_load_dwordx2 s[12:13], s[4:5], 0x0
	v_mov_b32_e32 v3, 0
	ds_read_b32 v1, v3 offset:64
	s_mul_i32 s6, s6, s7
	s_waitcnt lgkmcnt(0)
	s_load_dword s4, s[10:11], 0x0
	v_lshl_or_b32 v2, v0, 2, 2
	s_lshl_b32 s22, s20, 1
	v_lshl_add_u32 v8, v0, 1, s6
	s_lshl_b32 s23, s20, 2
	s_waitcnt lgkmcnt(0)
	v_div_scale_f32 v4, s[0:1], s4, s4, 1.0
	v_rcp_f32_e32 v5, v4
	v_div_scale_f32 v6, vcc, 1.0, s4, 1.0
	s_mov_b32 s24, 0
	v_fma_f32 v7, -v4, v5, 1.0
	v_fmac_f32_e32 v5, v7, v5
	v_mul_f32_e32 v7, v6, v5
	v_fma_f32 v9, -v4, v7, v6
	v_fmac_f32_e32 v7, v9, v5
	v_fma_f32 v4, -v4, v7, v6
	v_div_fmas_f32 v4, v4, v5, v7
	v_div_fixup_f32 v9, v4, s4, 1.0
	s_mov_b64 s[4:5], 0
	v_mov_b32_e32 v10, s3
	v_mov_b32_e32 v11, s9
	s_movk_i32 s3, 0x80
	s_mov_b64 s[6:7], 0x7f800000
	s_mov_b64 s[10:11], 0x43e00001
	s_movk_i32 s9, 0x79
	s_movk_i32 s25, 0x7f
	v_mov_b32_e32 v12, 0x78
	v_mov_b32_e32 v13, 0xffffff89
	v_pk_mov_b32 v[4:5], v[2:3], v[2:3] op_sel:[0,1]
	s_branch .LBB13_28
.LBB13_27:                              ;   in Loop: Header=BB13_28 Depth=1
	s_or_b64 exec, exec, s[0:1]
	v_add_u32_e32 v0, s20, v0
	v_add_u32_e32 v2, 1, v8
	v_cmp_le_i32_e32 vcc, s21, v0
	global_store_byte v2, v7, s[12:13]
	v_mov_b32_e32 v2, s24
	s_or_b64 s[4:5], vcc, s[4:5]
	v_add_co_u32_e32 v4, vcc, s23, v4
	v_add_u32_e32 v8, s22, v8
	v_addc_co_u32_e32 v5, vcc, v5, v2, vcc
	s_andn2_b64 exec, exec, s[4:5]
	s_cbranch_execz .LBB13_60
.LBB13_28:                              ; =>This Inner Loop Header: Depth=1
	v_add_co_u32_e32 v6, vcc, s2, v4
	v_addc_co_u32_e32 v7, vcc, v10, v5, vcc
	global_load_dword v14, v[6:7], off offset:-2
	v_add_co_u32_e32 v6, vcc, s8, v4
	v_addc_co_u32_e32 v7, vcc, v11, v5, vcc
	global_load_dword v15, v[6:7], off offset:-2
	v_mov_b32_e32 v19, v3
	s_waitcnt vmcnt(1)
	v_fma_mixlo_f16 v2, v1, v14, 0 op_sel_hi:[0,1,0]
	s_waitcnt vmcnt(0)
	v_mul_f16_e32 v2, v15, v2
	v_cvt_f32_f16_e32 v2, v2
	v_mul_f32_e32 v2, v9, v2
	v_min_f32_e32 v2, 0x43e00000, v2
	v_max_f32_e32 v6, 0xc3e00000, v2
	v_and_b32_sdwa v16, v6, s3 dst_sel:DWORD dst_unused:UNUSED_PAD src0_sel:BYTE_3 src1_sel:DWORD
	v_and_b32_e32 v18, 0x7f800000, v6
	v_and_b32_e32 v2, 0x7fffff, v6
	v_or_b32_e32 v7, 0x7e, v16
	v_cmp_ne_u64_e32 vcc, s[6:7], v[18:19]
	s_and_saveexec_b64 s[0:1], vcc
	s_xor_b64 s[14:15], exec, s[0:1]
	s_cbranch_execz .LBB13_42
; %bb.29:                               ;   in Loop: Header=BB13_28 Depth=1
	v_and_b32_e32 v18, 0x7fffffff, v6
	v_mov_b32_e32 v19, v3
	v_cmp_gt_u64_e32 vcc, s[10:11], v[18:19]
	s_and_saveexec_b64 s[0:1], vcc
	s_xor_b64 s[16:17], exec, s[0:1]
	s_cbranch_execz .LBB13_41
; %bb.30:                               ;   in Loop: Header=BB13_28 Depth=1
	v_cmp_ne_u32_e32 vcc, 0, v6
	v_mov_b32_e32 v7, 0
	s_and_saveexec_b64 s[18:19], vcc
	s_cbranch_execz .LBB13_40
; %bb.31:                               ;   in Loop: Header=BB13_28 Depth=1
	v_bfe_u32 v6, v6, 23, 8
	v_sub_u32_e64 v7, s9, v6 clamp
	v_cmp_eq_u32_e32 vcc, 0, v6
	v_cndmask_b32_e32 v21, v7, v12, vcc
	v_add_u32_e32 v20, 0xffffff88, v6
	v_add_u32_e32 v6, 20, v21
	v_or_b32_e32 v17, 0x800000, v2
	v_lshlrev_b64 v[6:7], v6, -1
	v_cndmask_b32_e32 v2, v17, v2, vcc
	v_not_b32_e32 v7, v7
	v_not_b32_e32 v6, v6
	v_add_u32_e32 v17, 19, v21
	v_and_b32_e32 v7, 0, v7
	v_and_b32_e32 v6, v2, v6
	v_lshlrev_b64 v[18:19], v17, 1
	v_cmp_eq_u64_e64 s[0:1], v[6:7], v[18:19]
	v_lshrrev_b64 v[6:7], v21, v[2:3]
	v_cndmask_b32_e32 v2, v20, v13, vcc
	v_lshrrev_b32_e32 v17, 23, v6
	v_add3_u32 v17, v2, v21, v17
	v_and_b32_e32 v2, 0x100000, v6
	v_cmp_eq_u64_e32 vcc, 0, v[2:3]
	s_and_b64 vcc, vcc, s[0:1]
	v_subbrev_co_u32_e32 v2, vcc, 0, v6, vcc
	v_and_b32_e32 v2, 0xfffff, v2
	v_add_co_u32_e32 v6, vcc, v2, v6
	v_add_u32_e32 v18, -1, v17
	v_addc_co_u32_e32 v7, vcc, 0, v7, vcc
	v_cmp_ne_u32_e32 vcc, 0, v18
                                        ; implicit-def: $vgpr2
	s_and_saveexec_b64 s[0:1], vcc
	s_xor_b64 s[0:1], exec, s[0:1]
; %bb.32:                               ;   in Loop: Header=BB13_28 Depth=1
	v_and_b32_e32 v2, 0x1000000, v6
	v_cmp_eq_u64_e32 vcc, 0, v[2:3]
	v_cndmask_b32_e32 v2, v17, v18, vcc
	v_bfe_u32 v17, v6, 24, 1
	v_lshrrev_b64 v[6:7], v17, v[6:7]
; %bb.33:                               ;   in Loop: Header=BB13_28 Depth=1
	s_andn2_saveexec_b64 s[0:1], s[0:1]
; %bb.34:                               ;   in Loop: Header=BB13_28 Depth=1
	v_bfe_u32 v2, v6, 23, 1
; %bb.35:                               ;   in Loop: Header=BB13_28 Depth=1
	s_or_b64 exec, exec, s[0:1]
	v_lshrrev_b64 v[6:7], 20, v[6:7]
	v_cmp_gt_i32_e32 vcc, 16, v2
	v_cndmask_b32_e32 v7, 0, v7, vcc
	v_cndmask_b32_e32 v6, 7, v6, vcc
	v_cmp_ne_u32_e32 vcc, 0, v2
	v_cmp_ne_u64_e64 s[0:1], 0, v[6:7]
	s_or_b64 s[0:1], vcc, s[0:1]
                                        ; implicit-def: $vgpr7
	s_and_saveexec_b64 s[26:27], s[0:1]
	s_xor_b64 s[0:1], exec, s[26:27]
; %bb.36:                               ;   in Loop: Header=BB13_28 Depth=1
	v_min_i32_e32 v2, 15, v2
	v_lshl_or_b32 v2, v2, 3, v16
	v_and_or_b32 v7, v6, 7, v2
                                        ; implicit-def: $vgpr16
; %bb.37:                               ;   in Loop: Header=BB13_28 Depth=1
	s_andn2_saveexec_b64 s[0:1], s[0:1]
; %bb.38:                               ;   in Loop: Header=BB13_28 Depth=1
	v_mov_b32_e32 v7, v16
; %bb.39:                               ;   in Loop: Header=BB13_28 Depth=1
	s_or_b64 exec, exec, s[0:1]
.LBB13_40:                              ;   in Loop: Header=BB13_28 Depth=1
	s_or_b64 exec, exec, s[18:19]
.LBB13_41:                              ;   in Loop: Header=BB13_28 Depth=1
	s_andn2_saveexec_b64 s[0:1], s[16:17]
	s_or_b64 exec, exec, s[0:1]
                                        ; implicit-def: $vgpr6
.LBB13_42:                              ;   in Loop: Header=BB13_28 Depth=1
	s_andn2_saveexec_b64 s[0:1], s[14:15]
; %bb.43:                               ;   in Loop: Header=BB13_28 Depth=1
	v_or_b32_sdwa v6, v6, s25 dst_sel:DWORD dst_unused:UNUSED_PAD src0_sel:BYTE_3 src1_sel:DWORD
	v_cmp_eq_u64_e32 vcc, 0, v[2:3]
	v_cndmask_b32_e32 v7, v6, v7, vcc
; %bb.44:                               ;   in Loop: Header=BB13_28 Depth=1
	s_or_b64 exec, exec, s[0:1]
	v_fma_mixlo_f16 v2, v1, v14, 0 op_sel:[0,1,0] op_sel_hi:[0,1,0]
	v_mul_f16_sdwa v2, v15, v2 dst_sel:DWORD dst_unused:UNUSED_PAD src0_sel:WORD_1 src1_sel:DWORD
	v_cvt_f32_f16_e32 v2, v2
	v_mov_b32_e32 v17, v3
	global_store_byte v8, v7, s[12:13]
	v_mul_f32_e32 v2, v9, v2
	v_min_f32_e32 v2, 0x43e00000, v2
	v_max_f32_e32 v6, 0xc3e00000, v2
	v_and_b32_sdwa v14, v6, s3 dst_sel:DWORD dst_unused:UNUSED_PAD src0_sel:BYTE_3 src1_sel:DWORD
	v_and_b32_e32 v16, 0x7f800000, v6
	v_and_b32_e32 v2, 0x7fffff, v6
	v_or_b32_e32 v7, 0x7e, v14
	v_cmp_ne_u64_e32 vcc, s[6:7], v[16:17]
	s_and_saveexec_b64 s[0:1], vcc
	s_xor_b64 s[14:15], exec, s[0:1]
	s_cbranch_execz .LBB13_58
; %bb.45:                               ;   in Loop: Header=BB13_28 Depth=1
	v_and_b32_e32 v16, 0x7fffffff, v6
	v_mov_b32_e32 v17, v3
	v_cmp_gt_u64_e32 vcc, s[10:11], v[16:17]
	s_and_saveexec_b64 s[0:1], vcc
	s_xor_b64 s[16:17], exec, s[0:1]
	s_cbranch_execz .LBB13_57
; %bb.46:                               ;   in Loop: Header=BB13_28 Depth=1
	v_cmp_ne_u32_e32 vcc, 0, v6
	v_mov_b32_e32 v7, 0
	s_and_saveexec_b64 s[18:19], vcc
	s_cbranch_execz .LBB13_56
; %bb.47:                               ;   in Loop: Header=BB13_28 Depth=1
	v_bfe_u32 v6, v6, 23, 8
	v_sub_u32_e64 v7, s9, v6 clamp
	v_cmp_eq_u32_e32 vcc, 0, v6
	v_cndmask_b32_e32 v19, v7, v12, vcc
	v_add_u32_e32 v18, 0xffffff88, v6
	v_add_u32_e32 v6, 20, v19
	v_or_b32_e32 v15, 0x800000, v2
	v_lshlrev_b64 v[6:7], v6, -1
	v_cndmask_b32_e32 v2, v15, v2, vcc
	v_not_b32_e32 v7, v7
	v_not_b32_e32 v6, v6
	v_add_u32_e32 v15, 19, v19
	v_and_b32_e32 v7, 0, v7
	v_and_b32_e32 v6, v2, v6
	v_lshlrev_b64 v[16:17], v15, 1
	v_cmp_eq_u64_e64 s[0:1], v[6:7], v[16:17]
	v_lshrrev_b64 v[6:7], v19, v[2:3]
	v_cndmask_b32_e32 v2, v18, v13, vcc
	v_lshrrev_b32_e32 v15, 23, v6
	v_add3_u32 v15, v2, v19, v15
	v_and_b32_e32 v2, 0x100000, v6
	v_cmp_eq_u64_e32 vcc, 0, v[2:3]
	s_and_b64 vcc, vcc, s[0:1]
	v_subbrev_co_u32_e32 v2, vcc, 0, v6, vcc
	v_and_b32_e32 v2, 0xfffff, v2
	v_add_co_u32_e32 v6, vcc, v2, v6
	v_add_u32_e32 v16, -1, v15
	v_addc_co_u32_e32 v7, vcc, 0, v7, vcc
	v_cmp_ne_u32_e32 vcc, 0, v16
                                        ; implicit-def: $vgpr2
	s_and_saveexec_b64 s[0:1], vcc
	s_xor_b64 s[0:1], exec, s[0:1]
; %bb.48:                               ;   in Loop: Header=BB13_28 Depth=1
	v_and_b32_e32 v2, 0x1000000, v6
	v_cmp_eq_u64_e32 vcc, 0, v[2:3]
	v_cndmask_b32_e32 v2, v15, v16, vcc
	v_bfe_u32 v15, v6, 24, 1
	v_lshrrev_b64 v[6:7], v15, v[6:7]
; %bb.49:                               ;   in Loop: Header=BB13_28 Depth=1
	s_andn2_saveexec_b64 s[0:1], s[0:1]
; %bb.50:                               ;   in Loop: Header=BB13_28 Depth=1
	v_bfe_u32 v2, v6, 23, 1
; %bb.51:                               ;   in Loop: Header=BB13_28 Depth=1
	s_or_b64 exec, exec, s[0:1]
	v_lshrrev_b64 v[6:7], 20, v[6:7]
	v_cmp_gt_i32_e32 vcc, 16, v2
	v_cndmask_b32_e32 v7, 0, v7, vcc
	v_cndmask_b32_e32 v6, 7, v6, vcc
	v_cmp_ne_u32_e32 vcc, 0, v2
	v_cmp_ne_u64_e64 s[0:1], 0, v[6:7]
	s_or_b64 s[0:1], vcc, s[0:1]
                                        ; implicit-def: $vgpr7
	s_and_saveexec_b64 s[26:27], s[0:1]
	s_xor_b64 s[0:1], exec, s[26:27]
; %bb.52:                               ;   in Loop: Header=BB13_28 Depth=1
	v_min_i32_e32 v2, 15, v2
	v_lshl_or_b32 v2, v2, 3, v14
	v_and_or_b32 v7, v6, 7, v2
                                        ; implicit-def: $vgpr14
; %bb.53:                               ;   in Loop: Header=BB13_28 Depth=1
	s_andn2_saveexec_b64 s[0:1], s[0:1]
; %bb.54:                               ;   in Loop: Header=BB13_28 Depth=1
	v_mov_b32_e32 v7, v14
; %bb.55:                               ;   in Loop: Header=BB13_28 Depth=1
	s_or_b64 exec, exec, s[0:1]
.LBB13_56:                              ;   in Loop: Header=BB13_28 Depth=1
	s_or_b64 exec, exec, s[18:19]
.LBB13_57:                              ;   in Loop: Header=BB13_28 Depth=1
	s_andn2_saveexec_b64 s[0:1], s[16:17]
	s_or_b64 exec, exec, s[0:1]
                                        ; implicit-def: $vgpr6
.LBB13_58:                              ;   in Loop: Header=BB13_28 Depth=1
	s_andn2_saveexec_b64 s[0:1], s[14:15]
	s_cbranch_execz .LBB13_27
; %bb.59:                               ;   in Loop: Header=BB13_28 Depth=1
	v_or_b32_sdwa v6, v6, s25 dst_sel:DWORD dst_unused:UNUSED_PAD src0_sel:BYTE_3 src1_sel:DWORD
	v_cmp_eq_u64_e32 vcc, 0, v[2:3]
	v_cndmask_b32_e32 v7, v6, v7, vcc
	s_branch .LBB13_27
.LBB13_60:
	s_endpgm
	.section	.rodata,"a",@progbits
	.p2align	6, 0x0
	.amdhsa_kernel _ZN4vllm32rms_norm_static_fp8_quant_kernelIN3c104HalfENS1_13Float8_e4m3fnELi2EEEvPT0_PKT_iS8_PKffii
		.amdhsa_group_segment_fixed_size 68
		.amdhsa_private_segment_fixed_size 0
		.amdhsa_kernarg_size 312
		.amdhsa_user_sgpr_count 6
		.amdhsa_user_sgpr_private_segment_buffer 1
		.amdhsa_user_sgpr_dispatch_ptr 0
		.amdhsa_user_sgpr_queue_ptr 0
		.amdhsa_user_sgpr_kernarg_segment_ptr 1
		.amdhsa_user_sgpr_dispatch_id 0
		.amdhsa_user_sgpr_flat_scratch_init 0
		.amdhsa_user_sgpr_kernarg_preload_length 0
		.amdhsa_user_sgpr_kernarg_preload_offset 0
		.amdhsa_user_sgpr_private_segment_size 0
		.amdhsa_uses_dynamic_stack 0
		.amdhsa_system_sgpr_private_segment_wavefront_offset 0
		.amdhsa_system_sgpr_workgroup_id_x 1
		.amdhsa_system_sgpr_workgroup_id_y 0
		.amdhsa_system_sgpr_workgroup_id_z 0
		.amdhsa_system_sgpr_workgroup_info 0
		.amdhsa_system_vgpr_workitem_id 0
		.amdhsa_next_free_vgpr 22
		.amdhsa_next_free_sgpr 28
		.amdhsa_accum_offset 24
		.amdhsa_reserve_vcc 1
		.amdhsa_reserve_flat_scratch 0
		.amdhsa_float_round_mode_32 0
		.amdhsa_float_round_mode_16_64 0
		.amdhsa_float_denorm_mode_32 3
		.amdhsa_float_denorm_mode_16_64 3
		.amdhsa_dx10_clamp 1
		.amdhsa_ieee_mode 1
		.amdhsa_fp16_overflow 0
		.amdhsa_tg_split 0
		.amdhsa_exception_fp_ieee_invalid_op 0
		.amdhsa_exception_fp_denorm_src 0
		.amdhsa_exception_fp_ieee_div_zero 0
		.amdhsa_exception_fp_ieee_overflow 0
		.amdhsa_exception_fp_ieee_underflow 0
		.amdhsa_exception_fp_ieee_inexact 0
		.amdhsa_exception_int_div_zero 0
	.end_amdhsa_kernel
	.section	.text._ZN4vllm32rms_norm_static_fp8_quant_kernelIN3c104HalfENS1_13Float8_e4m3fnELi2EEEvPT0_PKT_iS8_PKffii,"axG",@progbits,_ZN4vllm32rms_norm_static_fp8_quant_kernelIN3c104HalfENS1_13Float8_e4m3fnELi2EEEvPT0_PKT_iS8_PKffii,comdat
.Lfunc_end13:
	.size	_ZN4vllm32rms_norm_static_fp8_quant_kernelIN3c104HalfENS1_13Float8_e4m3fnELi2EEEvPT0_PKT_iS8_PKffii, .Lfunc_end13-_ZN4vllm32rms_norm_static_fp8_quant_kernelIN3c104HalfENS1_13Float8_e4m3fnELi2EEEvPT0_PKT_iS8_PKffii
                                        ; -- End function
	.section	.AMDGPU.csdata,"",@progbits
; Kernel info:
; codeLenInByte = 2732
; NumSgprs: 32
; NumVgprs: 22
; NumAgprs: 0
; TotalNumVgprs: 22
; ScratchSize: 0
; MemoryBound: 0
; FloatMode: 240
; IeeeMode: 1
; LDSByteSize: 68 bytes/workgroup (compile time only)
; SGPRBlocks: 3
; VGPRBlocks: 2
; NumSGPRsForWavesPerEU: 32
; NumVGPRsForWavesPerEU: 22
; AccumOffset: 24
; Occupancy: 8
; WaveLimiterHint : 0
; COMPUTE_PGM_RSRC2:SCRATCH_EN: 0
; COMPUTE_PGM_RSRC2:USER_SGPR: 6
; COMPUTE_PGM_RSRC2:TRAP_HANDLER: 0
; COMPUTE_PGM_RSRC2:TGID_X_EN: 1
; COMPUTE_PGM_RSRC2:TGID_Y_EN: 0
; COMPUTE_PGM_RSRC2:TGID_Z_EN: 0
; COMPUTE_PGM_RSRC2:TIDIG_COMP_CNT: 0
; COMPUTE_PGM_RSRC3_GFX90A:ACCUM_OFFSET: 5
; COMPUTE_PGM_RSRC3_GFX90A:TG_SPLIT: 0
	.section	.text._ZN4vllm32rms_norm_static_fp8_quant_kernelIN3c104HalfENS1_13Float8_e4m3fnELi1EEEvPT0_PKT_iS8_PKffii,"axG",@progbits,_ZN4vllm32rms_norm_static_fp8_quant_kernelIN3c104HalfENS1_13Float8_e4m3fnELi1EEEvPT0_PKT_iS8_PKffii,comdat
	.protected	_ZN4vllm32rms_norm_static_fp8_quant_kernelIN3c104HalfENS1_13Float8_e4m3fnELi1EEEvPT0_PKT_iS8_PKffii ; -- Begin function _ZN4vllm32rms_norm_static_fp8_quant_kernelIN3c104HalfENS1_13Float8_e4m3fnELi1EEEvPT0_PKT_iS8_PKffii
	.globl	_ZN4vllm32rms_norm_static_fp8_quant_kernelIN3c104HalfENS1_13Float8_e4m3fnELi1EEEvPT0_PKT_iS8_PKffii
	.p2align	8
	.type	_ZN4vllm32rms_norm_static_fp8_quant_kernelIN3c104HalfENS1_13Float8_e4m3fnELi1EEEvPT0_PKT_iS8_PKffii,@function
_ZN4vllm32rms_norm_static_fp8_quant_kernelIN3c104HalfENS1_13Float8_e4m3fnELi1EEEvPT0_PKT_iS8_PKffii: ; @_ZN4vllm32rms_norm_static_fp8_quant_kernelIN3c104HalfENS1_13Float8_e4m3fnELi1EEEvPT0_PKT_iS8_PKffii
; %bb.0:
	s_load_dword s0, s[4:5], 0x10
	s_load_dwordx2 s[2:3], s[4:5], 0x8
	s_load_dword s18, s[4:5], 0x30
	s_load_dword s10, s[4:5], 0x44
	s_mov_b32 s1, 0
	s_waitcnt lgkmcnt(0)
	s_mul_i32 s0, s6, s0
	s_lshl_b64 s[8:9], s[0:1], 1
	s_add_u32 s19, s2, s8
	s_addc_u32 s7, s3, s9
	s_and_b32 s20, s10, 0xffff
	s_bitcmp1_b32 s19, 0
	s_cselect_b64 s[0:1], -1, 0
	s_and_b64 vcc, exec, s[0:1]
	s_cbranch_vccz .LBB14_6
; %bb.1:
	s_min_i32 s10, s18, 0
	s_sub_i32 s12, s18, s10
	v_cmp_gt_i32_e32 vcc, s12, v0
	v_mov_b32_e32 v4, 0
	s_and_saveexec_b64 s[0:1], vcc
	s_cbranch_execz .LBB14_5
; %bb.2:
	s_ashr_i32 s11, s10, 31
	s_lshl_b64 s[10:11], s[10:11], 1
	s_add_u32 s13, s2, s8
	s_addc_u32 s15, s3, s9
	s_add_u32 s10, s13, s10
	v_lshlrev_b32_e32 v1, 1, v0
	s_addc_u32 s11, s15, s11
	s_mov_b32 s14, 0
	v_mov_b32_e32 v3, s11
	v_add_co_u32_e32 v2, vcc, s10, v1
	v_addc_co_u32_e32 v3, vcc, 0, v3, vcc
	s_lshl_b32 s13, s20, 1
	s_mov_b64 s[10:11], 0
	v_mov_b32_e32 v4, 0
	v_mov_b32_e32 v1, s14
	;; [unrolled: 1-line block ×3, first 2 shown]
.LBB14_3:                               ; =>This Inner Loop Header: Depth=1
	global_load_ushort v6, v[2:3], off
	v_add_co_u32_e32 v2, vcc, s13, v2
	v_add_u32_e32 v5, s20, v5
	v_addc_co_u32_e32 v3, vcc, v3, v1, vcc
	v_cmp_le_i32_e32 vcc, s12, v5
	s_or_b64 s[10:11], vcc, s[10:11]
	s_waitcnt vmcnt(0)
	v_fma_mix_f32 v4, v6, v6, v4 op_sel_hi:[1,1,0]
	s_andn2_b64 exec, exec, s[10:11]
	s_cbranch_execnz .LBB14_3
; %bb.4:
	s_or_b64 exec, exec, s[10:11]
.LBB14_5:
	s_or_b64 exec, exec, s[0:1]
	v_cmp_gt_i32_e64 s[0:1], s18, v0
	s_cbranch_execz .LBB14_7
	s_branch .LBB14_12
.LBB14_6:
                                        ; implicit-def: $vgpr4
	v_cmp_gt_i32_e64 s[0:1], s18, v0
.LBB14_7:
	v_mov_b32_e32 v4, 0
	s_and_saveexec_b64 s[10:11], s[0:1]
	s_cbranch_execz .LBB14_11
; %bb.8:
	s_add_u32 s0, s2, s8
	v_lshlrev_b32_e32 v1, 1, v0
	s_addc_u32 s1, s3, s9
	s_mov_b32 s12, 0
	v_mov_b32_e32 v3, s1
	v_add_co_u32_e32 v2, vcc, s0, v1
	v_addc_co_u32_e32 v3, vcc, 0, v3, vcc
	s_lshl_b32 s2, s20, 1
	s_mov_b64 s[0:1], 0
	v_mov_b32_e32 v4, 0
	v_mov_b32_e32 v1, s12
	;; [unrolled: 1-line block ×3, first 2 shown]
.LBB14_9:                               ; =>This Inner Loop Header: Depth=1
	global_load_ushort v6, v[2:3], off
	v_add_co_u32_e32 v2, vcc, s2, v2
	v_add_u32_e32 v5, s20, v5
	v_addc_co_u32_e32 v3, vcc, v3, v1, vcc
	v_cmp_le_i32_e32 vcc, s18, v5
	s_or_b64 s[0:1], vcc, s[0:1]
	s_waitcnt vmcnt(0)
	v_fma_mix_f32 v4, v6, v6, v4 op_sel_hi:[1,1,0]
	s_andn2_b64 exec, exec, s[0:1]
	s_cbranch_execnz .LBB14_9
; %bb.10:
	s_or_b64 exec, exec, s[0:1]
.LBB14_11:
	s_or_b64 exec, exec, s[10:11]
.LBB14_12:
	v_mbcnt_lo_u32_b32 v1, -1, 0
	v_mbcnt_hi_u32_b32 v1, -1, v1
	v_and_b32_e32 v2, 63, v1
	v_cmp_ne_u32_e32 vcc, 63, v2
	v_addc_co_u32_e32 v3, vcc, 0, v1, vcc
	v_lshlrev_b32_e32 v3, 2, v3
	ds_bpermute_b32 v3, v3, v4
	v_and_b32_e32 v5, 0x3c0, v0
	v_sub_u32_e64 v5, s20, v5 clamp
	v_add_u32_e32 v6, 1, v1
	v_cmp_lt_u32_e32 vcc, v6, v5
	s_waitcnt lgkmcnt(0)
	v_add_f32_e32 v3, v4, v3
	v_cndmask_b32_e32 v3, v4, v3, vcc
	v_cmp_gt_u32_e32 vcc, 62, v2
	v_cndmask_b32_e64 v4, 0, 1, vcc
	v_lshlrev_b32_e32 v4, 1, v4
	v_add_lshl_u32 v4, v4, v1, 2
	ds_bpermute_b32 v4, v4, v3
	v_add_u32_e32 v6, 2, v1
	v_cmp_lt_u32_e32 vcc, v6, v5
	v_add_u32_e32 v6, 4, v1
	s_waitcnt lgkmcnt(0)
	v_add_f32_e32 v4, v3, v4
	v_cndmask_b32_e32 v3, v3, v4, vcc
	v_cmp_gt_u32_e32 vcc, 60, v2
	v_cndmask_b32_e64 v4, 0, 1, vcc
	v_lshlrev_b32_e32 v4, 2, v4
	v_add_lshl_u32 v4, v4, v1, 2
	ds_bpermute_b32 v4, v4, v3
	v_cmp_lt_u32_e32 vcc, v6, v5
	v_add_u32_e32 v6, 8, v1
	s_waitcnt lgkmcnt(0)
	v_add_f32_e32 v4, v3, v4
	v_cndmask_b32_e32 v3, v3, v4, vcc
	v_cmp_gt_u32_e32 vcc, 56, v2
	v_cndmask_b32_e64 v4, 0, 1, vcc
	v_lshlrev_b32_e32 v4, 3, v4
	v_add_lshl_u32 v4, v4, v1, 2
	ds_bpermute_b32 v4, v4, v3
	;; [unrolled: 10-line block ×3, first 2 shown]
	v_cmp_lt_u32_e32 vcc, v6, v5
	s_waitcnt lgkmcnt(0)
	v_add_f32_e32 v4, v3, v4
	v_cndmask_b32_e32 v3, v3, v4, vcc
	v_cmp_gt_u32_e32 vcc, 32, v2
	v_cndmask_b32_e64 v2, 0, 1, vcc
	v_lshlrev_b32_e32 v2, 5, v2
	v_add_lshl_u32 v2, v2, v1, 2
	ds_bpermute_b32 v2, v2, v3
	v_add_u32_e32 v4, 32, v1
	v_cmp_lt_u32_e32 vcc, v4, v5
	s_waitcnt lgkmcnt(0)
	v_add_f32_e32 v2, v3, v2
	v_cndmask_b32_e32 v2, v3, v2, vcc
	v_cmp_eq_u32_e32 vcc, 0, v1
	s_and_saveexec_b64 s[0:1], vcc
	s_cbranch_execz .LBB14_14
; %bb.13:
	v_lshrrev_b32_e32 v3, 4, v0
	v_and_b32_e32 v3, 60, v3
	ds_write_b32 v3, v2
.LBB14_14:
	s_or_b64 exec, exec, s[0:1]
	v_cmp_gt_u32_e32 vcc, 16, v0
	s_waitcnt lgkmcnt(0)
	s_barrier
	s_and_saveexec_b64 s[2:3], vcc
	s_cbranch_execz .LBB14_16
; %bb.15:
	v_lshlrev_b32_e32 v2, 2, v1
	ds_read_b32 v2, v2
	v_and_b32_e32 v3, 15, v1
	v_cmp_ne_u32_e32 vcc, 15, v3
	v_addc_co_u32_e32 v4, vcc, 0, v1, vcc
	v_lshlrev_b32_e32 v4, 2, v4
	s_waitcnt lgkmcnt(0)
	ds_bpermute_b32 v4, v4, v2
	s_add_i32 s0, s20, 63
	s_lshr_b32 s8, s0, 6
	v_add_u32_e32 v5, 1, v3
	v_cmp_gt_u32_e64 s[0:1], 14, v3
	v_cmp_gt_u32_e32 vcc, s8, v5
	v_cndmask_b32_e64 v5, 0, 1, s[0:1]
	s_waitcnt lgkmcnt(0)
	v_add_f32_e32 v4, v2, v4
	v_lshlrev_b32_e32 v5, 1, v5
	v_cndmask_b32_e32 v4, v2, v4, vcc
	v_add_lshl_u32 v5, v5, v1, 2
	ds_bpermute_b32 v5, v5, v4
	v_add_u32_e32 v6, 2, v3
	v_cmp_gt_u32_e64 s[0:1], s8, v6
	v_add_u32_e32 v6, 4, v3
	s_waitcnt lgkmcnt(0)
	v_add_f32_e32 v5, v4, v5
	v_cndmask_b32_e64 v4, v4, v5, s[0:1]
	v_cmp_gt_u32_e64 s[0:1], 12, v3
	v_cndmask_b32_e64 v5, 0, 1, s[0:1]
	v_lshlrev_b32_e32 v5, 2, v5
	v_add_lshl_u32 v5, v5, v1, 2
	ds_bpermute_b32 v5, v5, v4
	v_cmp_gt_u32_e64 s[0:1], s8, v6
	s_waitcnt lgkmcnt(0)
	v_add_f32_e32 v5, v4, v5
	v_cndmask_b32_e64 v4, v4, v5, s[0:1]
	v_cmp_gt_u32_e64 s[0:1], 8, v3
	v_cndmask_b32_e64 v5, 0, 1, s[0:1]
	v_lshlrev_b32_e32 v5, 3, v5
	v_add_lshl_u32 v1, v5, v1, 2
	ds_bpermute_b32 v1, v1, v4
	v_add_u32_e32 v3, 8, v3
	v_cmp_gt_u32_e64 s[0:1], s8, v3
	s_waitcnt lgkmcnt(0)
	v_add_f32_e32 v1, v4, v1
	v_cndmask_b32_e64 v1, v4, v1, s[0:1]
	v_cndmask_b32_e32 v2, v2, v1, vcc
.LBB14_16:
	s_or_b64 exec, exec, s[2:3]
	v_cmp_eq_u32_e32 vcc, 0, v0
	s_and_saveexec_b64 s[0:1], vcc
	s_cbranch_execz .LBB14_18
; %bb.17:
	v_cvt_f32_i32_e32 v1, s18
	s_load_dword s8, s[4:5], 0x28
	v_div_scale_f32 v3, s[2:3], v1, v1, v2
	v_rcp_f32_e32 v4, v3
	v_div_scale_f32 v5, vcc, v2, v1, v2
	s_mov_b32 s2, 0x800000
	v_fma_f32 v6, -v3, v4, 1.0
	v_fmac_f32_e32 v4, v6, v4
	v_mul_f32_e32 v6, v5, v4
	v_fma_f32 v7, -v3, v6, v5
	v_fmac_f32_e32 v6, v7, v4
	v_fma_f32 v3, -v3, v6, v5
	v_div_fmas_f32 v3, v3, v4, v6
	v_div_fixup_f32 v1, v3, v1, v2
	s_waitcnt lgkmcnt(0)
	v_add_f32_e32 v1, s8, v1
	v_mul_f32_e32 v2, 0x4b800000, v1
	v_cmp_gt_f32_e32 vcc, s2, v1
	v_cndmask_b32_e32 v1, v1, v2, vcc
	v_rsq_f32_e32 v1, v1
	v_mul_f32_e32 v2, 0x45800000, v1
	v_cndmask_b32_e32 v1, v1, v2, vcc
	v_mov_b32_e32 v2, 0
	ds_write_b32 v2, v1 offset:64
.LBB14_18:
	s_or_b64 exec, exec, s[0:1]
	v_cmp_gt_i32_e32 vcc, s18, v0
	s_waitcnt lgkmcnt(0)
	s_barrier
	s_and_saveexec_b64 s[0:1], vcc
	s_cbranch_execz .LBB14_37
; %bb.19:
	s_load_dwordx4 s[8:11], s[4:5], 0x18
	s_load_dwordx2 s[2:3], s[4:5], 0x0
	s_mul_i32 s21, s6, s18
	v_mov_b32_e32 v3, 0
	ds_read_b32 v7, v3 offset:64
	s_waitcnt lgkmcnt(0)
	s_load_dword s6, s[10:11], 0x0
	s_mov_b64 s[4:5], 0
	v_mov_b32_e32 v6, s7
	v_mov_b32_e32 v8, s9
	s_movk_i32 s9, 0x80
	s_waitcnt lgkmcnt(0)
	v_div_scale_f32 v1, s[0:1], s6, s6, 1.0
	v_rcp_f32_e32 v2, v1
	v_div_scale_f32 v4, vcc, 1.0, s6, 1.0
	s_mov_b64 s[10:11], 0x43e00001
	v_fma_f32 v5, -v1, v2, 1.0
	v_fmac_f32_e32 v2, v5, v2
	v_mul_f32_e32 v5, v4, v2
	v_fma_f32 v9, -v1, v5, v4
	v_fmac_f32_e32 v5, v9, v2
	v_fma_f32 v1, -v1, v5, v4
	v_div_fmas_f32 v1, v1, v2, v5
	v_div_fixup_f32 v9, v1, s6, 1.0
	s_mov_b64 s[6:7], 0x7f800000
	s_movk_i32 s22, 0x79
	s_movk_i32 s23, 0x7f
	v_mov_b32_e32 v10, 0x78
	v_mov_b32_e32 v11, 0xffffff89
	s_branch .LBB14_21
.LBB14_20:                              ;   in Loop: Header=BB14_21 Depth=1
	s_or_b64 exec, exec, s[0:1]
	v_add_u32_e32 v1, s21, v0
	v_add_u32_e32 v0, s20, v0
	v_cmp_le_i32_e32 vcc, s18, v0
	s_or_b64 s[4:5], vcc, s[4:5]
	global_store_byte v1, v5, s[2:3]
	s_andn2_b64 exec, exec, s[4:5]
	s_cbranch_execz .LBB14_37
.LBB14_21:                              ; =>This Inner Loop Header: Depth=1
	v_ashrrev_i32_e32 v1, 31, v0
	v_lshlrev_b64 v[4:5], 1, v[0:1]
	v_add_co_u32_e32 v12, vcc, s19, v4
	v_addc_co_u32_e32 v13, vcc, v6, v5, vcc
	v_add_co_u32_e32 v4, vcc, s8, v4
	global_load_ushort v1, v[12:13], off
	v_addc_co_u32_e32 v5, vcc, v8, v5, vcc
	global_load_ushort v2, v[4:5], off
	v_mov_b32_e32 v13, v3
	s_waitcnt vmcnt(1)
	v_fma_mixlo_f16 v1, v7, v1, 0 op_sel_hi:[0,1,0]
	s_waitcnt vmcnt(0)
	v_mul_f16_e32 v1, v2, v1
	v_cvt_f32_f16_e32 v1, v1
	v_mul_f32_e32 v1, v9, v1
	v_min_f32_e32 v1, 0x43e00000, v1
	v_max_f32_e32 v4, 0xc3e00000, v1
	v_and_b32_sdwa v1, v4, s9 dst_sel:DWORD dst_unused:UNUSED_PAD src0_sel:BYTE_3 src1_sel:DWORD
	v_and_b32_e32 v12, 0x7f800000, v4
	v_and_b32_e32 v2, 0x7fffff, v4
	v_or_b32_e32 v5, 0x7e, v1
	v_cmp_ne_u64_e32 vcc, s[6:7], v[12:13]
	s_and_saveexec_b64 s[0:1], vcc
	s_xor_b64 s[12:13], exec, s[0:1]
	s_cbranch_execz .LBB14_35
; %bb.22:                               ;   in Loop: Header=BB14_21 Depth=1
	v_and_b32_e32 v12, 0x7fffffff, v4
	v_mov_b32_e32 v13, v3
	v_cmp_gt_u64_e32 vcc, s[10:11], v[12:13]
	s_and_saveexec_b64 s[0:1], vcc
	s_xor_b64 s[14:15], exec, s[0:1]
	s_cbranch_execz .LBB14_34
; %bb.23:                               ;   in Loop: Header=BB14_21 Depth=1
	v_cmp_ne_u32_e32 vcc, 0, v4
	v_mov_b32_e32 v5, 0
	s_and_saveexec_b64 s[16:17], vcc
	s_cbranch_execz .LBB14_33
; %bb.24:                               ;   in Loop: Header=BB14_21 Depth=1
	v_bfe_u32 v4, v4, 23, 8
	v_sub_u32_e64 v5, s22, v4 clamp
	v_cmp_eq_u32_e32 vcc, 0, v4
	v_cndmask_b32_e32 v15, v5, v10, vcc
	v_add_u32_e32 v14, 0xffffff88, v4
	v_add_u32_e32 v4, 20, v15
	v_or_b32_e32 v12, 0x800000, v2
	v_lshlrev_b64 v[4:5], v4, -1
	v_cndmask_b32_e32 v2, v12, v2, vcc
	v_not_b32_e32 v5, v5
	v_not_b32_e32 v4, v4
	v_add_u32_e32 v12, 19, v15
	v_and_b32_e32 v5, 0, v5
	v_and_b32_e32 v4, v2, v4
	v_lshlrev_b64 v[12:13], v12, 1
	v_cmp_eq_u64_e64 s[0:1], v[4:5], v[12:13]
	s_waitcnt vmcnt(0) expcnt(0) lgkmcnt(0)
	v_swap_b32 v0, v15
	v_lshrrev_b64 v[4:5], v0, v[2:3]
	v_swap_b32 v15, v0
	v_cndmask_b32_e32 v2, v14, v11, vcc
	v_lshrrev_b32_e32 v12, 23, v4
	v_add3_u32 v12, v2, v15, v12
	v_and_b32_e32 v2, 0x100000, v4
	v_cmp_eq_u64_e32 vcc, 0, v[2:3]
	s_and_b64 vcc, vcc, s[0:1]
	v_subbrev_co_u32_e32 v2, vcc, 0, v4, vcc
	v_and_b32_e32 v2, 0xfffff, v2
	v_add_co_u32_e32 v4, vcc, v2, v4
	v_add_u32_e32 v13, -1, v12
	v_addc_co_u32_e32 v5, vcc, 0, v5, vcc
	v_cmp_ne_u32_e32 vcc, 0, v13
                                        ; implicit-def: $vgpr2
	s_and_saveexec_b64 s[0:1], vcc
	s_xor_b64 s[0:1], exec, s[0:1]
; %bb.25:                               ;   in Loop: Header=BB14_21 Depth=1
	v_and_b32_e32 v2, 0x1000000, v4
	v_cmp_eq_u64_e32 vcc, 0, v[2:3]
	v_cndmask_b32_e32 v2, v12, v13, vcc
	v_bfe_u32 v12, v4, 24, 1
	v_lshrrev_b64 v[4:5], v12, v[4:5]
; %bb.26:                               ;   in Loop: Header=BB14_21 Depth=1
	s_andn2_saveexec_b64 s[0:1], s[0:1]
; %bb.27:                               ;   in Loop: Header=BB14_21 Depth=1
	v_bfe_u32 v2, v4, 23, 1
; %bb.28:                               ;   in Loop: Header=BB14_21 Depth=1
	s_or_b64 exec, exec, s[0:1]
	v_lshrrev_b64 v[4:5], 20, v[4:5]
	v_cmp_gt_i32_e32 vcc, 16, v2
	v_cndmask_b32_e32 v5, 0, v5, vcc
	v_cndmask_b32_e32 v4, 7, v4, vcc
	v_cmp_ne_u32_e32 vcc, 0, v2
	v_cmp_ne_u64_e64 s[0:1], 0, v[4:5]
	s_or_b64 s[0:1], vcc, s[0:1]
                                        ; implicit-def: $vgpr5
	s_and_saveexec_b64 s[24:25], s[0:1]
	s_xor_b64 s[0:1], exec, s[24:25]
; %bb.29:                               ;   in Loop: Header=BB14_21 Depth=1
	v_min_i32_e32 v2, 15, v2
	v_lshl_or_b32 v1, v2, 3, v1
	v_and_or_b32 v5, v4, 7, v1
                                        ; implicit-def: $vgpr1
; %bb.30:                               ;   in Loop: Header=BB14_21 Depth=1
	s_andn2_saveexec_b64 s[0:1], s[0:1]
; %bb.31:                               ;   in Loop: Header=BB14_21 Depth=1
	v_mov_b32_e32 v5, v1
; %bb.32:                               ;   in Loop: Header=BB14_21 Depth=1
	s_or_b64 exec, exec, s[0:1]
.LBB14_33:                              ;   in Loop: Header=BB14_21 Depth=1
	s_or_b64 exec, exec, s[16:17]
.LBB14_34:                              ;   in Loop: Header=BB14_21 Depth=1
	s_andn2_saveexec_b64 s[0:1], s[14:15]
	s_or_b64 exec, exec, s[0:1]
                                        ; implicit-def: $vgpr4
.LBB14_35:                              ;   in Loop: Header=BB14_21 Depth=1
	s_andn2_saveexec_b64 s[0:1], s[12:13]
	s_cbranch_execz .LBB14_20
; %bb.36:                               ;   in Loop: Header=BB14_21 Depth=1
	v_or_b32_sdwa v1, v4, s23 dst_sel:DWORD dst_unused:UNUSED_PAD src0_sel:BYTE_3 src1_sel:DWORD
	v_cmp_eq_u64_e32 vcc, 0, v[2:3]
	v_cndmask_b32_e32 v5, v1, v5, vcc
	s_branch .LBB14_20
.LBB14_37:
	s_endpgm
	.section	.rodata,"a",@progbits
	.p2align	6, 0x0
	.amdhsa_kernel _ZN4vllm32rms_norm_static_fp8_quant_kernelIN3c104HalfENS1_13Float8_e4m3fnELi1EEEvPT0_PKT_iS8_PKffii
		.amdhsa_group_segment_fixed_size 68
		.amdhsa_private_segment_fixed_size 0
		.amdhsa_kernarg_size 312
		.amdhsa_user_sgpr_count 6
		.amdhsa_user_sgpr_private_segment_buffer 1
		.amdhsa_user_sgpr_dispatch_ptr 0
		.amdhsa_user_sgpr_queue_ptr 0
		.amdhsa_user_sgpr_kernarg_segment_ptr 1
		.amdhsa_user_sgpr_dispatch_id 0
		.amdhsa_user_sgpr_flat_scratch_init 0
		.amdhsa_user_sgpr_kernarg_preload_length 0
		.amdhsa_user_sgpr_kernarg_preload_offset 0
		.amdhsa_user_sgpr_private_segment_size 0
		.amdhsa_uses_dynamic_stack 0
		.amdhsa_system_sgpr_private_segment_wavefront_offset 0
		.amdhsa_system_sgpr_workgroup_id_x 1
		.amdhsa_system_sgpr_workgroup_id_y 0
		.amdhsa_system_sgpr_workgroup_id_z 0
		.amdhsa_system_sgpr_workgroup_info 0
		.amdhsa_system_vgpr_workitem_id 0
		.amdhsa_next_free_vgpr 16
		.amdhsa_next_free_sgpr 26
		.amdhsa_accum_offset 16
		.amdhsa_reserve_vcc 1
		.amdhsa_reserve_flat_scratch 0
		.amdhsa_float_round_mode_32 0
		.amdhsa_float_round_mode_16_64 0
		.amdhsa_float_denorm_mode_32 3
		.amdhsa_float_denorm_mode_16_64 3
		.amdhsa_dx10_clamp 1
		.amdhsa_ieee_mode 1
		.amdhsa_fp16_overflow 0
		.amdhsa_tg_split 0
		.amdhsa_exception_fp_ieee_invalid_op 0
		.amdhsa_exception_fp_denorm_src 0
		.amdhsa_exception_fp_ieee_div_zero 0
		.amdhsa_exception_fp_ieee_overflow 0
		.amdhsa_exception_fp_ieee_underflow 0
		.amdhsa_exception_fp_ieee_inexact 0
		.amdhsa_exception_int_div_zero 0
	.end_amdhsa_kernel
	.section	.text._ZN4vllm32rms_norm_static_fp8_quant_kernelIN3c104HalfENS1_13Float8_e4m3fnELi1EEEvPT0_PKT_iS8_PKffii,"axG",@progbits,_ZN4vllm32rms_norm_static_fp8_quant_kernelIN3c104HalfENS1_13Float8_e4m3fnELi1EEEvPT0_PKT_iS8_PKffii,comdat
.Lfunc_end14:
	.size	_ZN4vllm32rms_norm_static_fp8_quant_kernelIN3c104HalfENS1_13Float8_e4m3fnELi1EEEvPT0_PKT_iS8_PKffii, .Lfunc_end14-_ZN4vllm32rms_norm_static_fp8_quant_kernelIN3c104HalfENS1_13Float8_e4m3fnELi1EEEvPT0_PKT_iS8_PKffii
                                        ; -- End function
	.section	.AMDGPU.csdata,"",@progbits
; Kernel info:
; codeLenInByte = 1948
; NumSgprs: 30
; NumVgprs: 16
; NumAgprs: 0
; TotalNumVgprs: 16
; ScratchSize: 0
; MemoryBound: 0
; FloatMode: 240
; IeeeMode: 1
; LDSByteSize: 68 bytes/workgroup (compile time only)
; SGPRBlocks: 3
; VGPRBlocks: 1
; NumSGPRsForWavesPerEU: 30
; NumVGPRsForWavesPerEU: 16
; AccumOffset: 16
; Occupancy: 8
; WaveLimiterHint : 0
; COMPUTE_PGM_RSRC2:SCRATCH_EN: 0
; COMPUTE_PGM_RSRC2:USER_SGPR: 6
; COMPUTE_PGM_RSRC2:TRAP_HANDLER: 0
; COMPUTE_PGM_RSRC2:TGID_X_EN: 1
; COMPUTE_PGM_RSRC2:TGID_Y_EN: 0
; COMPUTE_PGM_RSRC2:TGID_Z_EN: 0
; COMPUTE_PGM_RSRC2:TIDIG_COMP_CNT: 0
; COMPUTE_PGM_RSRC3_GFX90A:ACCUM_OFFSET: 3
; COMPUTE_PGM_RSRC3_GFX90A:TG_SPLIT: 0
	.section	.text._ZN4vllm32rms_norm_static_fp8_quant_kernelIN3c104HalfENS1_15Float8_e4m3fnuzELi16EEEvPT0_PKT_iS8_PKffii,"axG",@progbits,_ZN4vllm32rms_norm_static_fp8_quant_kernelIN3c104HalfENS1_15Float8_e4m3fnuzELi16EEEvPT0_PKT_iS8_PKffii,comdat
	.protected	_ZN4vllm32rms_norm_static_fp8_quant_kernelIN3c104HalfENS1_15Float8_e4m3fnuzELi16EEEvPT0_PKT_iS8_PKffii ; -- Begin function _ZN4vllm32rms_norm_static_fp8_quant_kernelIN3c104HalfENS1_15Float8_e4m3fnuzELi16EEEvPT0_PKT_iS8_PKffii
	.globl	_ZN4vllm32rms_norm_static_fp8_quant_kernelIN3c104HalfENS1_15Float8_e4m3fnuzELi16EEEvPT0_PKT_iS8_PKffii
	.p2align	8
	.type	_ZN4vllm32rms_norm_static_fp8_quant_kernelIN3c104HalfENS1_15Float8_e4m3fnuzELi16EEEvPT0_PKT_iS8_PKffii,@function
_ZN4vllm32rms_norm_static_fp8_quant_kernelIN3c104HalfENS1_15Float8_e4m3fnuzELi16EEEvPT0_PKT_iS8_PKffii: ; @_ZN4vllm32rms_norm_static_fp8_quant_kernelIN3c104HalfENS1_15Float8_e4m3fnuzELi16EEEvPT0_PKT_iS8_PKffii
; %bb.0:
	s_load_dword s2, s[4:5], 0x10
	s_load_dwordx2 s[0:1], s[4:5], 0x8
	s_load_dword s7, s[4:5], 0x30
	s_load_dword s10, s[4:5], 0x44
	s_mov_b32 s9, 0
	s_waitcnt lgkmcnt(0)
	s_mul_i32 s8, s6, s2
	s_lshl_b64 s[2:3], s[8:9], 1
	s_add_u32 s18, s0, s2
	s_addc_u32 s19, s1, s3
	s_and_b32 s20, s10, 0xffff
	s_and_b32 s8, s18, 31
	s_cmp_lg_u64 s[8:9], 0
	s_cselect_b64 s[8:9], -1, 0
	s_and_b32 s10, s7, 15
	s_cmp_lg_u32 s10, 0
	s_cselect_b64 s[10:11], -1, 0
	s_or_b64 s[8:9], s[8:9], s[10:11]
	s_and_b64 vcc, exec, s[8:9]
	s_cbranch_vccz .LBB15_14
; %bb.1:
	s_sub_i32 s8, 0, s18
	s_bfe_u32 s8, s8, 0x40001
	s_min_i32 s8, s8, s7
	v_cmp_gt_i32_e32 vcc, s8, v0
	v_mov_b32_e32 v1, 0
	s_and_saveexec_b64 s[10:11], vcc
	s_cbranch_execz .LBB15_5
; %bb.2:
	s_add_u32 s9, s0, s2
	v_lshlrev_b32_e32 v1, 1, v0
	s_addc_u32 s12, s1, s3
	s_mov_b32 s14, 0
	v_mov_b32_e32 v3, s12
	v_add_co_u32_e32 v2, vcc, s9, v1
	v_addc_co_u32_e32 v3, vcc, 0, v3, vcc
	s_lshl_b32 s9, s20, 1
	s_mov_b64 s[12:13], 0
	v_mov_b32_e32 v1, 0
	v_mov_b32_e32 v4, s14
	;; [unrolled: 1-line block ×3, first 2 shown]
.LBB15_3:                               ; =>This Inner Loop Header: Depth=1
	global_load_ushort v6, v[2:3], off
	v_add_co_u32_e32 v2, vcc, s9, v2
	v_add_u32_e32 v5, s20, v5
	v_addc_co_u32_e32 v3, vcc, v3, v4, vcc
	v_cmp_le_i32_e32 vcc, s8, v5
	s_or_b64 s[12:13], vcc, s[12:13]
	s_waitcnt vmcnt(0)
	v_fma_mix_f32 v1, v6, v6, v1 op_sel_hi:[1,1,0]
	s_andn2_b64 exec, exec, s[12:13]
	s_cbranch_execnz .LBB15_3
; %bb.4:
	s_or_b64 exec, exec, s[12:13]
.LBB15_5:
	s_or_b64 exec, exec, s[10:11]
	s_sub_i32 s14, s7, s8
	s_ashr_i32 s10, s14, 31
	s_lshr_b32 s10, s10, 28
	s_add_i32 s10, s14, s10
	s_ashr_i32 s15, s10, 4
	s_ashr_i32 s9, s8, 31
	v_cmp_gt_i32_e32 vcc, s15, v0
	s_and_saveexec_b64 s[10:11], vcc
	s_cbranch_execz .LBB15_9
; %bb.6:
	s_lshl_b64 s[12:13], s[8:9], 1
	s_add_u32 s16, s0, s2
	s_addc_u32 s21, s1, s3
	s_add_u32 s12, s16, s12
	v_lshlrev_b32_e32 v2, 5, v0
	s_addc_u32 s13, s21, s13
	s_mov_b32 s17, 0
	v_mov_b32_e32 v3, s13
	v_add_co_u32_e32 v2, vcc, s12, v2
	v_addc_co_u32_e32 v3, vcc, 0, v3, vcc
	s_lshl_b32 s16, s20, 5
	s_mov_b64 s[12:13], 0
	v_mov_b32_e32 v4, s17
	v_mov_b32_e32 v5, v0
.LBB15_7:                               ; =>This Inner Loop Header: Depth=1
	global_load_dwordx4 v[6:9], v[2:3], off
	global_load_dwordx4 v[10:13], v[2:3], off offset:16
	v_add_co_u32_e32 v2, vcc, s16, v2
	v_add_u32_e32 v5, s20, v5
	v_addc_co_u32_e32 v3, vcc, v3, v4, vcc
	v_cmp_le_i32_e32 vcc, s15, v5
	s_or_b64 s[12:13], vcc, s[12:13]
	s_waitcnt vmcnt(1)
	v_fma_mix_f32 v1, v6, v6, v1 op_sel_hi:[1,1,0]
	v_fma_mix_f32 v1, v6, v6, v1 op_sel:[1,1,0] op_sel_hi:[1,1,0]
	v_fma_mix_f32 v1, v7, v7, v1 op_sel_hi:[1,1,0]
	v_fma_mix_f32 v1, v7, v7, v1 op_sel:[1,1,0] op_sel_hi:[1,1,0]
	;; [unrolled: 2-line block ×4, first 2 shown]
	s_waitcnt vmcnt(0)
	v_fma_mix_f32 v1, v10, v10, v1 op_sel_hi:[1,1,0]
	v_fma_mix_f32 v1, v10, v10, v1 op_sel:[1,1,0] op_sel_hi:[1,1,0]
	v_fma_mix_f32 v1, v11, v11, v1 op_sel_hi:[1,1,0]
	v_fma_mix_f32 v1, v11, v11, v1 op_sel:[1,1,0] op_sel_hi:[1,1,0]
	v_fma_mix_f32 v1, v12, v12, v1 op_sel_hi:[1,1,0]
	v_fma_mix_f32 v1, v12, v12, v1 op_sel:[1,1,0] op_sel_hi:[1,1,0]
	v_fma_mix_f32 v1, v13, v13, v1 op_sel_hi:[1,1,0]
	v_fma_mix_f32 v1, v13, v13, v1 op_sel:[1,1,0] op_sel_hi:[1,1,0]
	s_andn2_b64 exec, exec, s[12:13]
	s_cbranch_execnz .LBB15_7
; %bb.8:
	s_or_b64 exec, exec, s[12:13]
.LBB15_9:
	s_or_b64 exec, exec, s[10:11]
	v_lshl_add_u32 v2, s15, 4, v0
	v_cmp_gt_i32_e32 vcc, s14, v2
	s_and_saveexec_b64 s[10:11], vcc
	s_cbranch_execz .LBB15_13
; %bb.10:
	s_lshl_b64 s[8:9], s[8:9], 1
	s_add_u32 s12, s0, s2
	s_addc_u32 s13, s1, s3
	v_ashrrev_i32_e32 v3, 31, v2
	s_add_u32 s8, s12, s8
	v_lshlrev_b64 v[4:5], 1, v[2:3]
	s_addc_u32 s9, s13, s9
	v_mov_b32_e32 v3, s9
	v_add_co_u32_e32 v4, vcc, s8, v4
	s_mov_b32 s13, 0
	v_addc_co_u32_e32 v5, vcc, v3, v5, vcc
	s_lshl_b32 s12, s20, 1
	s_mov_b64 s[8:9], 0
	v_mov_b32_e32 v3, s13
.LBB15_11:                              ; =>This Inner Loop Header: Depth=1
	global_load_ushort v6, v[4:5], off
	v_add_co_u32_e32 v4, vcc, s12, v4
	v_add_u32_e32 v2, s20, v2
	v_addc_co_u32_e32 v5, vcc, v5, v3, vcc
	v_cmp_le_i32_e32 vcc, s14, v2
	s_or_b64 s[8:9], vcc, s[8:9]
	s_waitcnt vmcnt(0)
	v_fma_mix_f32 v1, v6, v6, v1 op_sel_hi:[1,1,0]
	s_andn2_b64 exec, exec, s[8:9]
	s_cbranch_execnz .LBB15_11
; %bb.12:
	s_or_b64 exec, exec, s[8:9]
.LBB15_13:
	s_or_b64 exec, exec, s[10:11]
	s_branch .LBB15_20
.LBB15_14:
                                        ; implicit-def: $vgpr1
	s_cbranch_execz .LBB15_20
; %bb.15:
	s_ashr_i32 s10, s7, 4
	v_cmp_gt_i32_e32 vcc, s10, v0
	v_mov_b32_e32 v1, 0
	s_and_saveexec_b64 s[8:9], vcc
	s_cbranch_execz .LBB15_19
; %bb.16:
	s_add_u32 s0, s0, s2
	v_lshlrev_b32_e32 v1, 5, v0
	s_addc_u32 s1, s1, s3
	s_mov_b32 s11, 0
	v_mov_b32_e32 v3, s1
	v_add_co_u32_e32 v2, vcc, s0, v1
	v_addc_co_u32_e32 v3, vcc, 0, v3, vcc
	s_lshl_b32 s2, s20, 5
	s_mov_b64 s[0:1], 0
	v_mov_b32_e32 v1, 0
	v_mov_b32_e32 v4, s11
	;; [unrolled: 1-line block ×3, first 2 shown]
.LBB15_17:                              ; =>This Inner Loop Header: Depth=1
	global_load_dwordx4 v[6:9], v[2:3], off
	global_load_dwordx4 v[10:13], v[2:3], off offset:16
	v_add_co_u32_e32 v2, vcc, s2, v2
	v_add_u32_e32 v5, s20, v5
	v_addc_co_u32_e32 v3, vcc, v3, v4, vcc
	v_cmp_le_i32_e32 vcc, s10, v5
	s_or_b64 s[0:1], vcc, s[0:1]
	s_waitcnt vmcnt(1)
	v_fma_mix_f32 v1, v6, v6, v1 op_sel_hi:[1,1,0]
	v_fma_mix_f32 v1, v6, v6, v1 op_sel:[1,1,0] op_sel_hi:[1,1,0]
	v_fma_mix_f32 v1, v7, v7, v1 op_sel_hi:[1,1,0]
	v_fma_mix_f32 v1, v7, v7, v1 op_sel:[1,1,0] op_sel_hi:[1,1,0]
	;; [unrolled: 2-line block ×4, first 2 shown]
	s_waitcnt vmcnt(0)
	v_fma_mix_f32 v1, v10, v10, v1 op_sel_hi:[1,1,0]
	v_fma_mix_f32 v1, v10, v10, v1 op_sel:[1,1,0] op_sel_hi:[1,1,0]
	v_fma_mix_f32 v1, v11, v11, v1 op_sel_hi:[1,1,0]
	v_fma_mix_f32 v1, v11, v11, v1 op_sel:[1,1,0] op_sel_hi:[1,1,0]
	;; [unrolled: 2-line block ×4, first 2 shown]
	s_andn2_b64 exec, exec, s[0:1]
	s_cbranch_execnz .LBB15_17
; %bb.18:
	s_or_b64 exec, exec, s[0:1]
.LBB15_19:
	s_or_b64 exec, exec, s[8:9]
.LBB15_20:
	v_mbcnt_lo_u32_b32 v2, -1, 0
	v_mbcnt_hi_u32_b32 v2, -1, v2
	v_and_b32_e32 v3, 63, v2
	v_cmp_ne_u32_e32 vcc, 63, v3
	v_addc_co_u32_e32 v4, vcc, 0, v2, vcc
	v_lshlrev_b32_e32 v4, 2, v4
	ds_bpermute_b32 v4, v4, v1
	v_and_b32_e32 v5, 0x3c0, v0
	v_sub_u32_e64 v5, s20, v5 clamp
	v_add_u32_e32 v6, 1, v2
	v_cmp_lt_u32_e32 vcc, v6, v5
	s_waitcnt lgkmcnt(0)
	v_add_f32_e32 v4, v1, v4
	v_cndmask_b32_e32 v1, v1, v4, vcc
	v_cmp_gt_u32_e32 vcc, 62, v3
	v_cndmask_b32_e64 v4, 0, 1, vcc
	v_lshlrev_b32_e32 v4, 1, v4
	v_add_lshl_u32 v4, v4, v2, 2
	ds_bpermute_b32 v4, v4, v1
	v_add_u32_e32 v6, 2, v2
	v_cmp_lt_u32_e32 vcc, v6, v5
	v_add_u32_e32 v6, 4, v2
	s_waitcnt lgkmcnt(0)
	v_add_f32_e32 v4, v1, v4
	v_cndmask_b32_e32 v1, v1, v4, vcc
	v_cmp_gt_u32_e32 vcc, 60, v3
	v_cndmask_b32_e64 v4, 0, 1, vcc
	v_lshlrev_b32_e32 v4, 2, v4
	v_add_lshl_u32 v4, v4, v2, 2
	ds_bpermute_b32 v4, v4, v1
	v_cmp_lt_u32_e32 vcc, v6, v5
	v_add_u32_e32 v6, 8, v2
	s_waitcnt lgkmcnt(0)
	v_add_f32_e32 v4, v1, v4
	v_cndmask_b32_e32 v1, v1, v4, vcc
	v_cmp_gt_u32_e32 vcc, 56, v3
	v_cndmask_b32_e64 v4, 0, 1, vcc
	v_lshlrev_b32_e32 v4, 3, v4
	v_add_lshl_u32 v4, v4, v2, 2
	ds_bpermute_b32 v4, v4, v1
	v_cmp_lt_u32_e32 vcc, v6, v5
	v_add_u32_e32 v6, 16, v2
	s_waitcnt lgkmcnt(0)
	v_add_f32_e32 v4, v1, v4
	v_cndmask_b32_e32 v1, v1, v4, vcc
	v_cmp_gt_u32_e32 vcc, 48, v3
	v_cndmask_b32_e64 v4, 0, 1, vcc
	v_lshlrev_b32_e32 v4, 4, v4
	v_add_lshl_u32 v4, v4, v2, 2
	ds_bpermute_b32 v4, v4, v1
	v_cmp_lt_u32_e32 vcc, v6, v5
	s_waitcnt lgkmcnt(0)
	v_add_f32_e32 v4, v1, v4
	v_cndmask_b32_e32 v1, v1, v4, vcc
	v_cmp_gt_u32_e32 vcc, 32, v3
	v_cndmask_b32_e64 v3, 0, 1, vcc
	v_lshlrev_b32_e32 v3, 5, v3
	v_add_lshl_u32 v3, v3, v2, 2
	ds_bpermute_b32 v3, v3, v1
	v_add_u32_e32 v4, 32, v2
	v_cmp_lt_u32_e32 vcc, v4, v5
	s_waitcnt lgkmcnt(0)
	v_add_f32_e32 v3, v1, v3
	v_cndmask_b32_e32 v1, v1, v3, vcc
	v_cmp_eq_u32_e32 vcc, 0, v2
	s_and_saveexec_b64 s[0:1], vcc
	s_cbranch_execz .LBB15_22
; %bb.21:
	v_lshrrev_b32_e32 v3, 4, v0
	v_and_b32_e32 v3, 60, v3
	ds_write_b32 v3, v1
.LBB15_22:
	s_or_b64 exec, exec, s[0:1]
	v_cmp_gt_u32_e32 vcc, 16, v0
	s_waitcnt lgkmcnt(0)
	s_barrier
	s_and_saveexec_b64 s[2:3], vcc
	s_cbranch_execz .LBB15_24
; %bb.23:
	v_lshlrev_b32_e32 v1, 2, v2
	ds_read_b32 v1, v1
	v_and_b32_e32 v3, 15, v2
	v_cmp_ne_u32_e32 vcc, 15, v3
	v_addc_co_u32_e32 v4, vcc, 0, v2, vcc
	v_lshlrev_b32_e32 v4, 2, v4
	s_waitcnt lgkmcnt(0)
	ds_bpermute_b32 v4, v4, v1
	s_add_i32 s0, s20, 63
	s_lshr_b32 s8, s0, 6
	v_add_u32_e32 v5, 1, v3
	v_cmp_gt_u32_e64 s[0:1], 14, v3
	v_cmp_gt_u32_e32 vcc, s8, v5
	v_cndmask_b32_e64 v5, 0, 1, s[0:1]
	s_waitcnt lgkmcnt(0)
	v_add_f32_e32 v4, v1, v4
	v_lshlrev_b32_e32 v5, 1, v5
	v_cndmask_b32_e32 v4, v1, v4, vcc
	v_add_lshl_u32 v5, v5, v2, 2
	ds_bpermute_b32 v5, v5, v4
	v_add_u32_e32 v6, 2, v3
	v_cmp_gt_u32_e64 s[0:1], s8, v6
	v_add_u32_e32 v6, 4, v3
	s_waitcnt lgkmcnt(0)
	v_add_f32_e32 v5, v4, v5
	v_cndmask_b32_e64 v4, v4, v5, s[0:1]
	v_cmp_gt_u32_e64 s[0:1], 12, v3
	v_cndmask_b32_e64 v5, 0, 1, s[0:1]
	v_lshlrev_b32_e32 v5, 2, v5
	v_add_lshl_u32 v5, v5, v2, 2
	ds_bpermute_b32 v5, v5, v4
	v_cmp_gt_u32_e64 s[0:1], s8, v6
	s_waitcnt lgkmcnt(0)
	v_add_f32_e32 v5, v4, v5
	v_cndmask_b32_e64 v4, v4, v5, s[0:1]
	v_cmp_gt_u32_e64 s[0:1], 8, v3
	v_cndmask_b32_e64 v5, 0, 1, s[0:1]
	v_lshlrev_b32_e32 v5, 3, v5
	v_add_lshl_u32 v2, v5, v2, 2
	ds_bpermute_b32 v2, v2, v4
	v_add_u32_e32 v3, 8, v3
	v_cmp_gt_u32_e64 s[0:1], s8, v3
	s_waitcnt lgkmcnt(0)
	v_add_f32_e32 v2, v4, v2
	v_cndmask_b32_e64 v2, v4, v2, s[0:1]
	v_cndmask_b32_e32 v1, v1, v2, vcc
.LBB15_24:
	s_or_b64 exec, exec, s[2:3]
	v_cmp_eq_u32_e32 vcc, 0, v0
	s_and_saveexec_b64 s[0:1], vcc
	s_cbranch_execz .LBB15_26
; %bb.25:
	v_cvt_f32_i32_e32 v2, s7
	s_load_dword s8, s[4:5], 0x28
	v_div_scale_f32 v3, s[2:3], v2, v2, v1
	v_rcp_f32_e32 v4, v3
	v_div_scale_f32 v5, vcc, v1, v2, v1
	s_mov_b32 s2, 0x800000
	v_fma_f32 v6, -v3, v4, 1.0
	v_fmac_f32_e32 v4, v6, v4
	v_mul_f32_e32 v6, v5, v4
	v_fma_f32 v7, -v3, v6, v5
	v_fmac_f32_e32 v6, v7, v4
	v_fma_f32 v3, -v3, v6, v5
	v_div_fmas_f32 v3, v3, v4, v6
	v_div_fixup_f32 v1, v3, v2, v1
	s_waitcnt lgkmcnt(0)
	v_add_f32_e32 v1, s8, v1
	v_mul_f32_e32 v2, 0x4b800000, v1
	v_cmp_gt_f32_e32 vcc, s2, v1
	v_cndmask_b32_e32 v1, v1, v2, vcc
	v_rsq_f32_e32 v1, v1
	v_mul_f32_e32 v2, 0x45800000, v1
	v_cndmask_b32_e32 v1, v1, v2, vcc
	v_mov_b32_e32 v2, 0
	ds_write_b32 v2, v1 offset:64
.LBB15_26:
	s_or_b64 exec, exec, s[0:1]
	s_ashr_i32 s0, s7, 31
	s_lshr_b32 s0, s0, 28
	s_add_i32 s0, s7, s0
	s_ashr_i32 s21, s0, 4
	v_cmp_gt_i32_e32 vcc, s21, v0
	s_waitcnt lgkmcnt(0)
	s_barrier
	s_and_saveexec_b64 s[0:1], vcc
	s_cbranch_execz .LBB15_189
; %bb.27:
	s_load_dwordx4 s[8:11], s[4:5], 0x18
	s_load_dwordx2 s[2:3], s[4:5], 0x0
	v_mov_b32_e32 v19, 0
	ds_read_b32 v1, v19 offset:64
	s_mul_i32 s6, s6, s7
	s_waitcnt lgkmcnt(0)
	s_load_dword s4, s[10:11], 0x0
	s_lshl_b32 s22, s20, 4
	v_lshlrev_b32_e32 v20, 5, v0
	v_lshl_add_u32 v21, v0, 4, s6
	s_lshl_b32 s23, s20, 5
	s_waitcnt lgkmcnt(0)
	v_div_scale_f32 v2, s[0:1], s4, s4, 1.0
	v_rcp_f32_e32 v3, v2
	v_div_scale_f32 v4, vcc, 1.0, s4, 1.0
	s_movk_i32 s24, 0x7f
	v_fma_f32 v5, -v2, v3, 1.0
	v_fmac_f32_e32 v3, v5, v3
	v_mul_f32_e32 v5, v4, v3
	v_fma_f32 v6, -v2, v5, v4
	v_fmac_f32_e32 v5, v6, v3
	v_fma_f32 v2, -v2, v5, v4
	v_div_fmas_f32 v2, v2, v3, v5
	v_div_fixup_f32 v24, v2, s4, 1.0
	s_mov_b64 s[4:5], 0
	s_mov_b64 s[6:7], 0x7f800000
	;; [unrolled: 1-line block ×3, first 2 shown]
	s_movk_i32 s25, 0x78
	s_movk_i32 s26, 0x80
	v_mov_b32_e32 v25, 0x77
	v_mov_b32_e32 v26, 0xffffff8a
	s_branch .LBB15_32
.LBB15_28:                              ;   in Loop: Header=BB15_32 Depth=1
	s_or_b64 exec, exec, s[0:1]
	v_lshrrev_b64 v[2:3], 20, v[2:3]
	v_cmp_gt_i32_e32 vcc, 16, v5
	v_and_b32_sdwa v4, v4, s26 dst_sel:DWORD dst_unused:UNUSED_PAD src0_sel:BYTE_3 src1_sel:DWORD
	v_min_i32_e32 v6, 15, v5
	v_cndmask_b32_e32 v3, 0, v3, vcc
	v_cndmask_b32_e32 v2, 7, v2, vcc
	v_cmp_eq_u32_e32 vcc, 0, v5
	v_cmp_eq_u64_e64 s[0:1], 0, v[2:3]
	v_lshl_or_b32 v3, v6, 3, v4
	v_and_or_b32 v2, v2, 7, v3
	s_and_b64 s[0:1], vcc, s[0:1]
	v_cndmask_b32_e64 v2, v2, 0, s[0:1]
.LBB15_29:                              ;   in Loop: Header=BB15_32 Depth=1
	s_or_b64 exec, exec, s[16:17]
.LBB15_30:                              ;   in Loop: Header=BB15_32 Depth=1
	s_andn2_saveexec_b64 s[0:1], s[14:15]
	s_or_b64 exec, exec, s[0:1]
.LBB15_31:                              ;   in Loop: Header=BB15_32 Depth=1
	s_andn2_saveexec_b64 s[0:1], s[12:13]
	s_or_b64 exec, exec, s[0:1]
	s_add_u32 s8, s8, s23
	s_addc_u32 s9, s9, 0
	v_add_u32_e32 v0, s20, v0
	s_add_u32 s18, s18, s23
	s_addc_u32 s19, s19, 0
	v_cmp_le_i32_e32 vcc, s21, v0
	v_add_u32_e32 v3, 15, v21
	s_or_b64 s[4:5], vcc, s[4:5]
	v_add_u32_e32 v21, s22, v21
	global_store_byte v3, v2, s[2:3]
	s_andn2_b64 exec, exec, s[4:5]
	s_cbranch_execz .LBB15_189
.LBB15_32:                              ; =>This Inner Loop Header: Depth=1
	v_mov_b32_e32 v2, s19
	v_add_co_u32_e32 v22, vcc, s18, v20
	v_addc_co_u32_e32 v23, vcc, 0, v2, vcc
	v_mov_b32_e32 v2, s9
	v_add_co_u32_e32 v28, vcc, s8, v20
	v_addc_co_u32_e32 v29, vcc, 0, v2, vcc
	global_load_dwordx4 v[10:13], v[22:23], off
	global_load_dwordx4 v[14:17], v[28:29], off
	global_load_dwordx4 v[2:5], v[22:23], off offset:16
	global_load_dwordx4 v[6:9], v[28:29], off offset:16
	s_waitcnt vmcnt(3)
	v_fma_mixlo_f16 v18, v1, v10, 0 op_sel_hi:[0,1,0]
	s_waitcnt vmcnt(2)
	v_mul_f16_e32 v18, v14, v18
	v_cvt_f32_f16_e32 v18, v18
	v_mul_f32_e32 v18, v24, v18
	v_min_f32_e32 v18, 0x43600000, v18
	v_max_f32_e32 v27, 0xc3600000, v18
	v_and_b32_e32 v18, 0x7f800000, v27
	v_or_b32_sdwa v22, v27, s24 dst_sel:DWORD dst_unused:UNUSED_PAD src0_sel:BYTE_3 src1_sel:DWORD
	v_cmp_ne_u64_e32 vcc, s[6:7], v[18:19]
	s_and_saveexec_b64 s[0:1], vcc
	s_xor_b64 s[12:13], exec, s[0:1]
	s_cbranch_execz .LBB15_42
; %bb.33:                               ;   in Loop: Header=BB15_32 Depth=1
	v_and_b32_e32 v18, 0x7fffffff, v27
	v_cmp_gt_u64_e32 vcc, s[10:11], v[18:19]
	s_and_saveexec_b64 s[0:1], vcc
	s_xor_b64 s[14:15], exec, s[0:1]
	s_cbranch_execz .LBB15_41
; %bb.34:                               ;   in Loop: Header=BB15_32 Depth=1
	v_cmp_ne_u32_e32 vcc, 0, v27
	v_mov_b32_e32 v22, 0
	s_and_saveexec_b64 s[16:17], vcc
	s_cbranch_execz .LBB15_40
; %bb.35:                               ;   in Loop: Header=BB15_32 Depth=1
	v_bfe_u32 v22, v27, 23, 8
	v_sub_u32_e64 v23, s25, v22 clamp
	v_cmp_eq_u32_e32 vcc, 0, v22
	v_cndmask_b32_e32 v31, v23, v25, vcc
	v_and_b32_e32 v18, 0x7fffff, v27
	v_add_u32_e32 v30, 0xffffff89, v22
	v_add_u32_e32 v22, 20, v31
	v_or_b32_e32 v28, 0x800000, v18
	v_lshlrev_b64 v[22:23], v22, -1
	v_cndmask_b32_e32 v18, v28, v18, vcc
	v_not_b32_e32 v22, v22
	v_add_u32_e32 v28, 19, v31
	v_and_b32_e32 v22, v18, v22
	v_mov_b32_e32 v23, v19
	v_lshlrev_b64 v[28:29], v28, 1
	v_cmp_eq_u64_e64 s[0:1], v[22:23], v[28:29]
	s_waitcnt vmcnt(0) expcnt(0) lgkmcnt(0)
	v_swap_b32 v0, v31
	v_lshrrev_b64 v[22:23], v0, v[18:19]
	v_swap_b32 v31, v0
	v_cndmask_b32_e32 v18, v30, v26, vcc
	v_lshrrev_b32_e32 v28, 23, v22
	v_add3_u32 v28, v18, v31, v28
	v_and_b32_e32 v18, 0x100000, v22
	v_cmp_eq_u64_e32 vcc, 0, v[18:19]
	s_and_b64 vcc, vcc, s[0:1]
	v_subbrev_co_u32_e32 v18, vcc, 0, v22, vcc
	v_and_b32_e32 v18, 0xfffff, v18
	v_add_co_u32_e32 v22, vcc, v18, v22
	v_add_u32_e32 v29, -1, v28
	v_addc_co_u32_e32 v23, vcc, 0, v23, vcc
	v_cmp_ne_u32_e32 vcc, 0, v29
                                        ; implicit-def: $vgpr18
	s_and_saveexec_b64 s[0:1], vcc
	s_xor_b64 s[0:1], exec, s[0:1]
; %bb.36:                               ;   in Loop: Header=BB15_32 Depth=1
	v_and_b32_e32 v18, 0x1000000, v22
	v_cmp_eq_u64_e32 vcc, 0, v[18:19]
	v_cndmask_b32_e32 v18, v28, v29, vcc
	v_bfe_u32 v28, v22, 24, 1
	v_lshrrev_b64 v[22:23], v28, v[22:23]
; %bb.37:                               ;   in Loop: Header=BB15_32 Depth=1
	s_andn2_saveexec_b64 s[0:1], s[0:1]
; %bb.38:                               ;   in Loop: Header=BB15_32 Depth=1
	v_bfe_u32 v18, v22, 23, 1
; %bb.39:                               ;   in Loop: Header=BB15_32 Depth=1
	s_or_b64 exec, exec, s[0:1]
	v_lshrrev_b64 v[22:23], 20, v[22:23]
	v_cmp_gt_i32_e32 vcc, 16, v18
	v_and_b32_sdwa v27, v27, s26 dst_sel:DWORD dst_unused:UNUSED_PAD src0_sel:BYTE_3 src1_sel:DWORD
	v_min_i32_e32 v28, 15, v18
	v_cndmask_b32_e32 v23, 0, v23, vcc
	v_cndmask_b32_e32 v22, 7, v22, vcc
	v_cmp_eq_u32_e32 vcc, 0, v18
	v_cmp_eq_u64_e64 s[0:1], 0, v[22:23]
	v_lshl_or_b32 v18, v28, 3, v27
	v_and_or_b32 v18, v22, 7, v18
	s_and_b64 s[0:1], vcc, s[0:1]
	v_cndmask_b32_e64 v22, v18, 0, s[0:1]
.LBB15_40:                              ;   in Loop: Header=BB15_32 Depth=1
	s_or_b64 exec, exec, s[16:17]
.LBB15_41:                              ;   in Loop: Header=BB15_32 Depth=1
	s_andn2_saveexec_b64 s[0:1], s[14:15]
	s_or_b64 exec, exec, s[0:1]
.LBB15_42:                              ;   in Loop: Header=BB15_32 Depth=1
	s_andn2_saveexec_b64 s[0:1], s[12:13]
	s_or_b64 exec, exec, s[0:1]
	v_fma_mixlo_f16 v10, v1, v10, 0 op_sel:[0,1,0] op_sel_hi:[0,1,0]
	v_mul_f16_sdwa v10, v14, v10 dst_sel:DWORD dst_unused:UNUSED_PAD src0_sel:WORD_1 src1_sel:DWORD
	v_cvt_f32_f16_e32 v10, v10
	global_store_byte v21, v22, s[2:3]
	v_mul_f32_e32 v10, v24, v10
	v_min_f32_e32 v10, 0x43600000, v10
	v_max_f32_e32 v10, 0xc3600000, v10
	v_and_b32_e32 v18, 0x7f800000, v10
	v_or_b32_sdwa v14, v10, s24 dst_sel:DWORD dst_unused:UNUSED_PAD src0_sel:BYTE_3 src1_sel:DWORD
	v_cmp_ne_u64_e32 vcc, s[6:7], v[18:19]
	s_and_saveexec_b64 s[0:1], vcc
	s_xor_b64 s[12:13], exec, s[0:1]
	s_cbranch_execz .LBB15_52
; %bb.43:                               ;   in Loop: Header=BB15_32 Depth=1
	v_and_b32_e32 v18, 0x7fffffff, v10
	v_cmp_gt_u64_e32 vcc, s[10:11], v[18:19]
	s_and_saveexec_b64 s[0:1], vcc
	s_xor_b64 s[14:15], exec, s[0:1]
	s_cbranch_execz .LBB15_51
; %bb.44:                               ;   in Loop: Header=BB15_32 Depth=1
	v_cmp_ne_u32_e32 vcc, 0, v10
	v_mov_b32_e32 v14, 0
	s_and_saveexec_b64 s[16:17], vcc
	s_cbranch_execz .LBB15_50
; %bb.45:                               ;   in Loop: Header=BB15_32 Depth=1
	v_bfe_u32 v18, v10, 23, 8
	v_and_b32_e32 v14, 0x7fffff, v10
	v_sub_u32_e64 v22, s25, v18 clamp
	v_cmp_eq_u32_e32 vcc, 0, v18
	v_or_b32_e32 v23, 0x800000, v14
	v_cndmask_b32_e32 v30, v22, v25, vcc
	v_add_u32_e32 v27, 0xffffff89, v18
	v_cndmask_b32_e32 v18, v23, v14, vcc
	v_add_u32_e32 v14, 20, v30
	v_lshlrev_b64 v[22:23], v14, -1
	v_not_b32_e32 v14, v22
	v_and_b32_e32 v22, v18, v14
	v_add_u32_e32 v14, 19, v30
	v_mov_b32_e32 v23, v19
	v_lshlrev_b64 v[28:29], v14, 1
	v_cmp_eq_u64_e64 s[0:1], v[22:23], v[28:29]
	v_lshrrev_b64 v[22:23], v30, v[18:19]
	v_cndmask_b32_e32 v14, v27, v26, vcc
	v_lshrrev_b32_e32 v18, 23, v22
	v_add3_u32 v27, v14, v30, v18
	v_and_b32_e32 v18, 0x100000, v22
	v_cmp_eq_u64_e32 vcc, 0, v[18:19]
	s_and_b64 vcc, vcc, s[0:1]
	v_subbrev_co_u32_e32 v14, vcc, 0, v22, vcc
	v_and_b32_e32 v14, 0xfffff, v14
	v_add_co_u32_e32 v22, vcc, v14, v22
	v_add_u32_e32 v28, -1, v27
	v_addc_co_u32_e32 v23, vcc, 0, v23, vcc
	v_cmp_ne_u32_e32 vcc, 0, v28
                                        ; implicit-def: $vgpr14
	s_and_saveexec_b64 s[0:1], vcc
	s_xor_b64 s[0:1], exec, s[0:1]
; %bb.46:                               ;   in Loop: Header=BB15_32 Depth=1
	v_and_b32_e32 v18, 0x1000000, v22
	v_cmp_eq_u64_e32 vcc, 0, v[18:19]
	v_bfe_u32 v18, v22, 24, 1
	v_cndmask_b32_e32 v14, v27, v28, vcc
	v_lshrrev_b64 v[22:23], v18, v[22:23]
; %bb.47:                               ;   in Loop: Header=BB15_32 Depth=1
	s_andn2_saveexec_b64 s[0:1], s[0:1]
; %bb.48:                               ;   in Loop: Header=BB15_32 Depth=1
	v_bfe_u32 v14, v22, 23, 1
; %bb.49:                               ;   in Loop: Header=BB15_32 Depth=1
	s_or_b64 exec, exec, s[0:1]
	v_lshrrev_b64 v[22:23], 20, v[22:23]
	v_cmp_gt_i32_e32 vcc, 16, v14
	v_and_b32_sdwa v10, v10, s26 dst_sel:DWORD dst_unused:UNUSED_PAD src0_sel:BYTE_3 src1_sel:DWORD
	v_min_i32_e32 v18, 15, v14
	v_cndmask_b32_e32 v23, 0, v23, vcc
	v_cndmask_b32_e32 v22, 7, v22, vcc
	v_cmp_eq_u32_e32 vcc, 0, v14
	v_cmp_eq_u64_e64 s[0:1], 0, v[22:23]
	v_lshl_or_b32 v10, v18, 3, v10
	v_and_or_b32 v10, v22, 7, v10
	s_and_b64 s[0:1], vcc, s[0:1]
	v_cndmask_b32_e64 v14, v10, 0, s[0:1]
.LBB15_50:                              ;   in Loop: Header=BB15_32 Depth=1
	s_or_b64 exec, exec, s[16:17]
.LBB15_51:                              ;   in Loop: Header=BB15_32 Depth=1
	s_andn2_saveexec_b64 s[0:1], s[14:15]
	s_or_b64 exec, exec, s[0:1]
.LBB15_52:                              ;   in Loop: Header=BB15_32 Depth=1
	s_andn2_saveexec_b64 s[0:1], s[12:13]
	s_or_b64 exec, exec, s[0:1]
	v_fma_mixlo_f16 v10, v1, v11, 0 op_sel_hi:[0,1,0]
	v_mul_f16_e32 v10, v15, v10
	v_cvt_f32_f16_e32 v10, v10
	v_add_u32_e32 v18, 1, v21
	global_store_byte v18, v14, s[2:3]
	v_mul_f32_e32 v10, v24, v10
	v_min_f32_e32 v10, 0x43600000, v10
	v_max_f32_e32 v10, 0xc3600000, v10
	v_and_b32_e32 v18, 0x7f800000, v10
	v_or_b32_sdwa v14, v10, s24 dst_sel:DWORD dst_unused:UNUSED_PAD src0_sel:BYTE_3 src1_sel:DWORD
	v_cmp_ne_u64_e32 vcc, s[6:7], v[18:19]
	s_and_saveexec_b64 s[0:1], vcc
	s_xor_b64 s[12:13], exec, s[0:1]
	s_cbranch_execz .LBB15_62
; %bb.53:                               ;   in Loop: Header=BB15_32 Depth=1
	v_and_b32_e32 v18, 0x7fffffff, v10
	v_cmp_gt_u64_e32 vcc, s[10:11], v[18:19]
	s_and_saveexec_b64 s[0:1], vcc
	s_xor_b64 s[14:15], exec, s[0:1]
	s_cbranch_execz .LBB15_61
; %bb.54:                               ;   in Loop: Header=BB15_32 Depth=1
	v_cmp_ne_u32_e32 vcc, 0, v10
	v_mov_b32_e32 v14, 0
	s_and_saveexec_b64 s[16:17], vcc
	s_cbranch_execz .LBB15_60
; %bb.55:                               ;   in Loop: Header=BB15_32 Depth=1
	v_bfe_u32 v18, v10, 23, 8
	v_and_b32_e32 v14, 0x7fffff, v10
	v_sub_u32_e64 v22, s25, v18 clamp
	v_cmp_eq_u32_e32 vcc, 0, v18
	v_or_b32_e32 v23, 0x800000, v14
	v_cndmask_b32_e32 v30, v22, v25, vcc
	v_add_u32_e32 v27, 0xffffff89, v18
	v_cndmask_b32_e32 v18, v23, v14, vcc
	v_add_u32_e32 v14, 20, v30
	v_lshlrev_b64 v[22:23], v14, -1
	v_not_b32_e32 v14, v22
	v_and_b32_e32 v22, v18, v14
	v_add_u32_e32 v14, 19, v30
	v_mov_b32_e32 v23, v19
	v_lshlrev_b64 v[28:29], v14, 1
	v_cmp_eq_u64_e64 s[0:1], v[22:23], v[28:29]
	v_lshrrev_b64 v[22:23], v30, v[18:19]
	v_cndmask_b32_e32 v14, v27, v26, vcc
	v_lshrrev_b32_e32 v18, 23, v22
	v_add3_u32 v27, v14, v30, v18
	v_and_b32_e32 v18, 0x100000, v22
	v_cmp_eq_u64_e32 vcc, 0, v[18:19]
	s_and_b64 vcc, vcc, s[0:1]
	v_subbrev_co_u32_e32 v14, vcc, 0, v22, vcc
	v_and_b32_e32 v14, 0xfffff, v14
	v_add_co_u32_e32 v22, vcc, v14, v22
	v_add_u32_e32 v28, -1, v27
	v_addc_co_u32_e32 v23, vcc, 0, v23, vcc
	v_cmp_ne_u32_e32 vcc, 0, v28
                                        ; implicit-def: $vgpr14
	s_and_saveexec_b64 s[0:1], vcc
	s_xor_b64 s[0:1], exec, s[0:1]
; %bb.56:                               ;   in Loop: Header=BB15_32 Depth=1
	v_and_b32_e32 v18, 0x1000000, v22
	v_cmp_eq_u64_e32 vcc, 0, v[18:19]
	v_bfe_u32 v18, v22, 24, 1
	v_cndmask_b32_e32 v14, v27, v28, vcc
	v_lshrrev_b64 v[22:23], v18, v[22:23]
; %bb.57:                               ;   in Loop: Header=BB15_32 Depth=1
	s_andn2_saveexec_b64 s[0:1], s[0:1]
; %bb.58:                               ;   in Loop: Header=BB15_32 Depth=1
	v_bfe_u32 v14, v22, 23, 1
; %bb.59:                               ;   in Loop: Header=BB15_32 Depth=1
	s_or_b64 exec, exec, s[0:1]
	v_lshrrev_b64 v[22:23], 20, v[22:23]
	v_cmp_gt_i32_e32 vcc, 16, v14
	v_and_b32_sdwa v10, v10, s26 dst_sel:DWORD dst_unused:UNUSED_PAD src0_sel:BYTE_3 src1_sel:DWORD
	v_min_i32_e32 v18, 15, v14
	v_cndmask_b32_e32 v23, 0, v23, vcc
	v_cndmask_b32_e32 v22, 7, v22, vcc
	v_cmp_eq_u32_e32 vcc, 0, v14
	v_cmp_eq_u64_e64 s[0:1], 0, v[22:23]
	v_lshl_or_b32 v10, v18, 3, v10
	v_and_or_b32 v10, v22, 7, v10
	s_and_b64 s[0:1], vcc, s[0:1]
	v_cndmask_b32_e64 v14, v10, 0, s[0:1]
.LBB15_60:                              ;   in Loop: Header=BB15_32 Depth=1
	s_or_b64 exec, exec, s[16:17]
.LBB15_61:                              ;   in Loop: Header=BB15_32 Depth=1
	s_andn2_saveexec_b64 s[0:1], s[14:15]
	s_or_b64 exec, exec, s[0:1]
.LBB15_62:                              ;   in Loop: Header=BB15_32 Depth=1
	s_andn2_saveexec_b64 s[0:1], s[12:13]
	s_or_b64 exec, exec, s[0:1]
	v_fma_mixlo_f16 v10, v1, v11, 0 op_sel:[0,1,0] op_sel_hi:[0,1,0]
	v_mul_f16_sdwa v10, v15, v10 dst_sel:DWORD dst_unused:UNUSED_PAD src0_sel:WORD_1 src1_sel:DWORD
	v_cvt_f32_f16_e32 v10, v10
	v_add_u32_e32 v11, 2, v21
	global_store_byte v11, v14, s[2:3]
	v_mul_f32_e32 v10, v24, v10
	v_min_f32_e32 v10, 0x43600000, v10
	v_max_f32_e32 v14, 0xc3600000, v10
	v_and_b32_e32 v18, 0x7f800000, v14
	v_or_b32_sdwa v10, v14, s24 dst_sel:DWORD dst_unused:UNUSED_PAD src0_sel:BYTE_3 src1_sel:DWORD
	v_cmp_ne_u64_e32 vcc, s[6:7], v[18:19]
	s_and_saveexec_b64 s[0:1], vcc
	s_xor_b64 s[12:13], exec, s[0:1]
	s_cbranch_execz .LBB15_72
; %bb.63:                               ;   in Loop: Header=BB15_32 Depth=1
	v_and_b32_e32 v18, 0x7fffffff, v14
	v_cmp_gt_u64_e32 vcc, s[10:11], v[18:19]
	s_and_saveexec_b64 s[0:1], vcc
	s_xor_b64 s[14:15], exec, s[0:1]
	s_cbranch_execz .LBB15_71
; %bb.64:                               ;   in Loop: Header=BB15_32 Depth=1
	v_cmp_ne_u32_e32 vcc, 0, v14
	v_mov_b32_e32 v10, 0
	s_and_saveexec_b64 s[16:17], vcc
	s_cbranch_execz .LBB15_70
; %bb.65:                               ;   in Loop: Header=BB15_32 Depth=1
	v_bfe_u32 v11, v14, 23, 8
	v_and_b32_e32 v10, 0x7fffff, v14
	v_sub_u32_e64 v15, s25, v11 clamp
	v_cmp_eq_u32_e32 vcc, 0, v11
	v_or_b32_e32 v18, 0x800000, v10
	v_cndmask_b32_e32 v15, v15, v25, vcc
	v_cndmask_b32_e32 v18, v18, v10, vcc
	v_add_u32_e32 v10, 20, v15
	v_add_u32_e32 v27, 0xffffff89, v11
	v_lshlrev_b64 v[10:11], v10, -1
	v_not_b32_e32 v10, v10
	v_add_u32_e32 v22, 19, v15
	v_and_b32_e32 v10, v18, v10
	v_mov_b32_e32 v11, v19
	v_lshlrev_b64 v[22:23], v22, 1
	v_cmp_eq_u64_e64 s[0:1], v[10:11], v[22:23]
	v_lshrrev_b64 v[10:11], v15, v[18:19]
	v_cndmask_b32_e32 v18, v27, v26, vcc
	v_lshrrev_b32_e32 v22, 23, v10
	v_add3_u32 v22, v18, v15, v22
	v_and_b32_e32 v18, 0x100000, v10
	v_cmp_eq_u64_e32 vcc, 0, v[18:19]
	s_and_b64 vcc, vcc, s[0:1]
	v_subbrev_co_u32_e32 v15, vcc, 0, v10, vcc
	v_and_b32_e32 v15, 0xfffff, v15
	v_add_co_u32_e32 v10, vcc, v15, v10
	v_add_u32_e32 v23, -1, v22
	v_addc_co_u32_e32 v11, vcc, 0, v11, vcc
	v_cmp_ne_u32_e32 vcc, 0, v23
                                        ; implicit-def: $vgpr15
	s_and_saveexec_b64 s[0:1], vcc
	s_xor_b64 s[0:1], exec, s[0:1]
; %bb.66:                               ;   in Loop: Header=BB15_32 Depth=1
	v_and_b32_e32 v18, 0x1000000, v10
	v_cmp_eq_u64_e32 vcc, 0, v[18:19]
	v_bfe_u32 v18, v10, 24, 1
	v_cndmask_b32_e32 v15, v22, v23, vcc
	v_lshrrev_b64 v[10:11], v18, v[10:11]
; %bb.67:                               ;   in Loop: Header=BB15_32 Depth=1
	s_andn2_saveexec_b64 s[0:1], s[0:1]
; %bb.68:                               ;   in Loop: Header=BB15_32 Depth=1
	v_bfe_u32 v15, v10, 23, 1
; %bb.69:                               ;   in Loop: Header=BB15_32 Depth=1
	s_or_b64 exec, exec, s[0:1]
	v_lshrrev_b64 v[10:11], 20, v[10:11]
	v_cmp_gt_i32_e32 vcc, 16, v15
	v_and_b32_sdwa v14, v14, s26 dst_sel:DWORD dst_unused:UNUSED_PAD src0_sel:BYTE_3 src1_sel:DWORD
	v_min_i32_e32 v18, 15, v15
	v_cndmask_b32_e32 v11, 0, v11, vcc
	v_cndmask_b32_e32 v10, 7, v10, vcc
	v_cmp_eq_u32_e32 vcc, 0, v15
	v_cmp_eq_u64_e64 s[0:1], 0, v[10:11]
	v_lshl_or_b32 v11, v18, 3, v14
	v_and_or_b32 v10, v10, 7, v11
	s_and_b64 s[0:1], vcc, s[0:1]
	v_cndmask_b32_e64 v10, v10, 0, s[0:1]
.LBB15_70:                              ;   in Loop: Header=BB15_32 Depth=1
	s_or_b64 exec, exec, s[16:17]
.LBB15_71:                              ;   in Loop: Header=BB15_32 Depth=1
	s_andn2_saveexec_b64 s[0:1], s[14:15]
	s_or_b64 exec, exec, s[0:1]
.LBB15_72:                              ;   in Loop: Header=BB15_32 Depth=1
	s_andn2_saveexec_b64 s[0:1], s[12:13]
	s_or_b64 exec, exec, s[0:1]
	v_fma_mixlo_f16 v11, v1, v12, 0 op_sel_hi:[0,1,0]
	v_mul_f16_e32 v11, v16, v11
	v_cvt_f32_f16_e32 v11, v11
	v_add_u32_e32 v14, 3, v21
	global_store_byte v14, v10, s[2:3]
	v_mul_f32_e32 v10, v24, v11
	v_min_f32_e32 v10, 0x43600000, v10
	v_max_f32_e32 v14, 0xc3600000, v10
	v_and_b32_e32 v18, 0x7f800000, v14
	v_or_b32_sdwa v10, v14, s24 dst_sel:DWORD dst_unused:UNUSED_PAD src0_sel:BYTE_3 src1_sel:DWORD
	v_cmp_ne_u64_e32 vcc, s[6:7], v[18:19]
	s_and_saveexec_b64 s[0:1], vcc
	s_xor_b64 s[12:13], exec, s[0:1]
	s_cbranch_execz .LBB15_82
; %bb.73:                               ;   in Loop: Header=BB15_32 Depth=1
	v_and_b32_e32 v18, 0x7fffffff, v14
	v_cmp_gt_u64_e32 vcc, s[10:11], v[18:19]
	s_and_saveexec_b64 s[0:1], vcc
	s_xor_b64 s[14:15], exec, s[0:1]
	s_cbranch_execz .LBB15_81
; %bb.74:                               ;   in Loop: Header=BB15_32 Depth=1
	v_cmp_ne_u32_e32 vcc, 0, v14
	v_mov_b32_e32 v10, 0
	s_and_saveexec_b64 s[16:17], vcc
	s_cbranch_execz .LBB15_80
; %bb.75:                               ;   in Loop: Header=BB15_32 Depth=1
	v_bfe_u32 v11, v14, 23, 8
	v_and_b32_e32 v10, 0x7fffff, v14
	v_sub_u32_e64 v15, s25, v11 clamp
	v_cmp_eq_u32_e32 vcc, 0, v11
	v_or_b32_e32 v18, 0x800000, v10
	v_cndmask_b32_e32 v15, v15, v25, vcc
	v_cndmask_b32_e32 v18, v18, v10, vcc
	v_add_u32_e32 v10, 20, v15
	v_add_u32_e32 v27, 0xffffff89, v11
	v_lshlrev_b64 v[10:11], v10, -1
	v_not_b32_e32 v10, v10
	v_add_u32_e32 v22, 19, v15
	v_and_b32_e32 v10, v18, v10
	v_mov_b32_e32 v11, v19
	v_lshlrev_b64 v[22:23], v22, 1
	v_cmp_eq_u64_e64 s[0:1], v[10:11], v[22:23]
	v_lshrrev_b64 v[10:11], v15, v[18:19]
	v_cndmask_b32_e32 v18, v27, v26, vcc
	v_lshrrev_b32_e32 v22, 23, v10
	v_add3_u32 v22, v18, v15, v22
	v_and_b32_e32 v18, 0x100000, v10
	v_cmp_eq_u64_e32 vcc, 0, v[18:19]
	s_and_b64 vcc, vcc, s[0:1]
	v_subbrev_co_u32_e32 v15, vcc, 0, v10, vcc
	v_and_b32_e32 v15, 0xfffff, v15
	v_add_co_u32_e32 v10, vcc, v15, v10
	v_add_u32_e32 v23, -1, v22
	v_addc_co_u32_e32 v11, vcc, 0, v11, vcc
	v_cmp_ne_u32_e32 vcc, 0, v23
                                        ; implicit-def: $vgpr15
	s_and_saveexec_b64 s[0:1], vcc
	s_xor_b64 s[0:1], exec, s[0:1]
; %bb.76:                               ;   in Loop: Header=BB15_32 Depth=1
	v_and_b32_e32 v18, 0x1000000, v10
	v_cmp_eq_u64_e32 vcc, 0, v[18:19]
	v_bfe_u32 v18, v10, 24, 1
	v_cndmask_b32_e32 v15, v22, v23, vcc
	v_lshrrev_b64 v[10:11], v18, v[10:11]
; %bb.77:                               ;   in Loop: Header=BB15_32 Depth=1
	s_andn2_saveexec_b64 s[0:1], s[0:1]
; %bb.78:                               ;   in Loop: Header=BB15_32 Depth=1
	v_bfe_u32 v15, v10, 23, 1
; %bb.79:                               ;   in Loop: Header=BB15_32 Depth=1
	s_or_b64 exec, exec, s[0:1]
	v_lshrrev_b64 v[10:11], 20, v[10:11]
	v_cmp_gt_i32_e32 vcc, 16, v15
	v_and_b32_sdwa v14, v14, s26 dst_sel:DWORD dst_unused:UNUSED_PAD src0_sel:BYTE_3 src1_sel:DWORD
	v_min_i32_e32 v18, 15, v15
	v_cndmask_b32_e32 v11, 0, v11, vcc
	v_cndmask_b32_e32 v10, 7, v10, vcc
	v_cmp_eq_u32_e32 vcc, 0, v15
	v_cmp_eq_u64_e64 s[0:1], 0, v[10:11]
	v_lshl_or_b32 v11, v18, 3, v14
	v_and_or_b32 v10, v10, 7, v11
	s_and_b64 s[0:1], vcc, s[0:1]
	v_cndmask_b32_e64 v10, v10, 0, s[0:1]
.LBB15_80:                              ;   in Loop: Header=BB15_32 Depth=1
	s_or_b64 exec, exec, s[16:17]
.LBB15_81:                              ;   in Loop: Header=BB15_32 Depth=1
	s_andn2_saveexec_b64 s[0:1], s[14:15]
	s_or_b64 exec, exec, s[0:1]
.LBB15_82:                              ;   in Loop: Header=BB15_32 Depth=1
	s_andn2_saveexec_b64 s[0:1], s[12:13]
	s_or_b64 exec, exec, s[0:1]
	v_fma_mixlo_f16 v11, v1, v12, 0 op_sel:[0,1,0] op_sel_hi:[0,1,0]
	v_mul_f16_sdwa v11, v16, v11 dst_sel:DWORD dst_unused:UNUSED_PAD src0_sel:WORD_1 src1_sel:DWORD
	v_cvt_f32_f16_e32 v11, v11
	v_add_u32_e32 v12, 4, v21
	global_store_byte v12, v10, s[2:3]
	v_mul_f32_e32 v10, v24, v11
	v_min_f32_e32 v10, 0x43600000, v10
	v_max_f32_e32 v12, 0xc3600000, v10
	v_and_b32_e32 v18, 0x7f800000, v12
	v_or_b32_sdwa v10, v12, s24 dst_sel:DWORD dst_unused:UNUSED_PAD src0_sel:BYTE_3 src1_sel:DWORD
	v_cmp_ne_u64_e32 vcc, s[6:7], v[18:19]
	s_and_saveexec_b64 s[0:1], vcc
	s_xor_b64 s[12:13], exec, s[0:1]
	s_cbranch_execz .LBB15_92
; %bb.83:                               ;   in Loop: Header=BB15_32 Depth=1
	v_and_b32_e32 v18, 0x7fffffff, v12
	v_cmp_gt_u64_e32 vcc, s[10:11], v[18:19]
	s_and_saveexec_b64 s[0:1], vcc
	s_xor_b64 s[14:15], exec, s[0:1]
	s_cbranch_execz .LBB15_91
; %bb.84:                               ;   in Loop: Header=BB15_32 Depth=1
	v_cmp_ne_u32_e32 vcc, 0, v12
	v_mov_b32_e32 v10, 0
	s_and_saveexec_b64 s[16:17], vcc
	s_cbranch_execz .LBB15_90
; %bb.85:                               ;   in Loop: Header=BB15_32 Depth=1
	v_bfe_u32 v11, v12, 23, 8
	v_and_b32_e32 v10, 0x7fffff, v12
	v_sub_u32_e64 v14, s25, v11 clamp
	v_cmp_eq_u32_e32 vcc, 0, v11
	v_or_b32_e32 v15, 0x800000, v10
	v_cndmask_b32_e32 v22, v14, v25, vcc
	v_cndmask_b32_e32 v18, v15, v10, vcc
	v_add_u32_e32 v10, 20, v22
	v_add_u32_e32 v16, 0xffffff89, v11
	v_lshlrev_b64 v[10:11], v10, -1
	v_not_b32_e32 v10, v10
	v_add_u32_e32 v14, 19, v22
	v_and_b32_e32 v10, v18, v10
	v_mov_b32_e32 v11, v19
	v_lshlrev_b64 v[14:15], v14, 1
	v_cmp_eq_u64_e64 s[0:1], v[10:11], v[14:15]
	v_lshrrev_b64 v[10:11], v22, v[18:19]
	v_and_b32_e32 v18, 0x100000, v10
	v_cndmask_b32_e32 v14, v16, v26, vcc
	v_cmp_eq_u64_e32 vcc, 0, v[18:19]
	v_lshrrev_b32_e32 v15, 23, v10
	s_and_b64 vcc, vcc, s[0:1]
	v_add3_u32 v15, v14, v22, v15
	v_subbrev_co_u32_e32 v14, vcc, 0, v10, vcc
	v_and_b32_e32 v14, 0xfffff, v14
	v_add_co_u32_e32 v10, vcc, v14, v10
	v_add_u32_e32 v16, -1, v15
	v_addc_co_u32_e32 v11, vcc, 0, v11, vcc
	v_cmp_ne_u32_e32 vcc, 0, v16
                                        ; implicit-def: $vgpr14
	s_and_saveexec_b64 s[0:1], vcc
	s_xor_b64 s[0:1], exec, s[0:1]
; %bb.86:                               ;   in Loop: Header=BB15_32 Depth=1
	v_and_b32_e32 v18, 0x1000000, v10
	v_cmp_eq_u64_e32 vcc, 0, v[18:19]
	v_cndmask_b32_e32 v14, v15, v16, vcc
	v_bfe_u32 v15, v10, 24, 1
	v_lshrrev_b64 v[10:11], v15, v[10:11]
; %bb.87:                               ;   in Loop: Header=BB15_32 Depth=1
	s_andn2_saveexec_b64 s[0:1], s[0:1]
; %bb.88:                               ;   in Loop: Header=BB15_32 Depth=1
	v_bfe_u32 v14, v10, 23, 1
; %bb.89:                               ;   in Loop: Header=BB15_32 Depth=1
	s_or_b64 exec, exec, s[0:1]
	v_lshrrev_b64 v[10:11], 20, v[10:11]
	v_cmp_gt_i32_e32 vcc, 16, v14
	v_and_b32_sdwa v12, v12, s26 dst_sel:DWORD dst_unused:UNUSED_PAD src0_sel:BYTE_3 src1_sel:DWORD
	v_min_i32_e32 v15, 15, v14
	v_cndmask_b32_e32 v11, 0, v11, vcc
	v_cndmask_b32_e32 v10, 7, v10, vcc
	v_cmp_eq_u32_e32 vcc, 0, v14
	v_cmp_eq_u64_e64 s[0:1], 0, v[10:11]
	v_lshl_or_b32 v11, v15, 3, v12
	v_and_or_b32 v10, v10, 7, v11
	s_and_b64 s[0:1], vcc, s[0:1]
	v_cndmask_b32_e64 v10, v10, 0, s[0:1]
.LBB15_90:                              ;   in Loop: Header=BB15_32 Depth=1
	s_or_b64 exec, exec, s[16:17]
.LBB15_91:                              ;   in Loop: Header=BB15_32 Depth=1
	s_andn2_saveexec_b64 s[0:1], s[14:15]
	s_or_b64 exec, exec, s[0:1]
.LBB15_92:                              ;   in Loop: Header=BB15_32 Depth=1
	s_andn2_saveexec_b64 s[0:1], s[12:13]
	s_or_b64 exec, exec, s[0:1]
	v_fma_mixlo_f16 v11, v1, v13, 0 op_sel_hi:[0,1,0]
	v_mul_f16_e32 v11, v17, v11
	v_cvt_f32_f16_e32 v11, v11
	v_add_u32_e32 v12, 5, v21
	global_store_byte v12, v10, s[2:3]
	v_mul_f32_e32 v10, v24, v11
	v_min_f32_e32 v10, 0x43600000, v10
	v_max_f32_e32 v12, 0xc3600000, v10
	v_and_b32_e32 v18, 0x7f800000, v12
	v_or_b32_sdwa v10, v12, s24 dst_sel:DWORD dst_unused:UNUSED_PAD src0_sel:BYTE_3 src1_sel:DWORD
	v_cmp_ne_u64_e32 vcc, s[6:7], v[18:19]
	s_and_saveexec_b64 s[0:1], vcc
	s_xor_b64 s[12:13], exec, s[0:1]
	s_cbranch_execz .LBB15_102
; %bb.93:                               ;   in Loop: Header=BB15_32 Depth=1
	v_and_b32_e32 v18, 0x7fffffff, v12
	v_cmp_gt_u64_e32 vcc, s[10:11], v[18:19]
	s_and_saveexec_b64 s[0:1], vcc
	s_xor_b64 s[14:15], exec, s[0:1]
	s_cbranch_execz .LBB15_101
; %bb.94:                               ;   in Loop: Header=BB15_32 Depth=1
	v_cmp_ne_u32_e32 vcc, 0, v12
	v_mov_b32_e32 v10, 0
	s_and_saveexec_b64 s[16:17], vcc
	s_cbranch_execz .LBB15_100
; %bb.95:                               ;   in Loop: Header=BB15_32 Depth=1
	v_bfe_u32 v11, v12, 23, 8
	v_and_b32_e32 v10, 0x7fffff, v12
	v_sub_u32_e64 v14, s25, v11 clamp
	v_cmp_eq_u32_e32 vcc, 0, v11
	v_or_b32_e32 v15, 0x800000, v10
	v_cndmask_b32_e32 v22, v14, v25, vcc
	v_cndmask_b32_e32 v18, v15, v10, vcc
	v_add_u32_e32 v10, 20, v22
	v_add_u32_e32 v16, 0xffffff89, v11
	v_lshlrev_b64 v[10:11], v10, -1
	v_not_b32_e32 v10, v10
	v_add_u32_e32 v14, 19, v22
	v_and_b32_e32 v10, v18, v10
	v_mov_b32_e32 v11, v19
	v_lshlrev_b64 v[14:15], v14, 1
	v_cmp_eq_u64_e64 s[0:1], v[10:11], v[14:15]
	v_lshrrev_b64 v[10:11], v22, v[18:19]
	v_and_b32_e32 v18, 0x100000, v10
	v_cndmask_b32_e32 v14, v16, v26, vcc
	v_cmp_eq_u64_e32 vcc, 0, v[18:19]
	v_lshrrev_b32_e32 v15, 23, v10
	s_and_b64 vcc, vcc, s[0:1]
	v_add3_u32 v15, v14, v22, v15
	v_subbrev_co_u32_e32 v14, vcc, 0, v10, vcc
	v_and_b32_e32 v14, 0xfffff, v14
	v_add_co_u32_e32 v10, vcc, v14, v10
	v_add_u32_e32 v16, -1, v15
	v_addc_co_u32_e32 v11, vcc, 0, v11, vcc
	v_cmp_ne_u32_e32 vcc, 0, v16
                                        ; implicit-def: $vgpr14
	s_and_saveexec_b64 s[0:1], vcc
	s_xor_b64 s[0:1], exec, s[0:1]
; %bb.96:                               ;   in Loop: Header=BB15_32 Depth=1
	v_and_b32_e32 v18, 0x1000000, v10
	v_cmp_eq_u64_e32 vcc, 0, v[18:19]
	v_cndmask_b32_e32 v14, v15, v16, vcc
	v_bfe_u32 v15, v10, 24, 1
	v_lshrrev_b64 v[10:11], v15, v[10:11]
; %bb.97:                               ;   in Loop: Header=BB15_32 Depth=1
	s_andn2_saveexec_b64 s[0:1], s[0:1]
; %bb.98:                               ;   in Loop: Header=BB15_32 Depth=1
	v_bfe_u32 v14, v10, 23, 1
; %bb.99:                               ;   in Loop: Header=BB15_32 Depth=1
	s_or_b64 exec, exec, s[0:1]
	v_lshrrev_b64 v[10:11], 20, v[10:11]
	v_cmp_gt_i32_e32 vcc, 16, v14
	v_and_b32_sdwa v12, v12, s26 dst_sel:DWORD dst_unused:UNUSED_PAD src0_sel:BYTE_3 src1_sel:DWORD
	v_min_i32_e32 v15, 15, v14
	v_cndmask_b32_e32 v11, 0, v11, vcc
	v_cndmask_b32_e32 v10, 7, v10, vcc
	v_cmp_eq_u32_e32 vcc, 0, v14
	v_cmp_eq_u64_e64 s[0:1], 0, v[10:11]
	v_lshl_or_b32 v11, v15, 3, v12
	v_and_or_b32 v10, v10, 7, v11
	s_and_b64 s[0:1], vcc, s[0:1]
	v_cndmask_b32_e64 v10, v10, 0, s[0:1]
.LBB15_100:                             ;   in Loop: Header=BB15_32 Depth=1
	s_or_b64 exec, exec, s[16:17]
.LBB15_101:                             ;   in Loop: Header=BB15_32 Depth=1
	s_andn2_saveexec_b64 s[0:1], s[14:15]
	s_or_b64 exec, exec, s[0:1]
.LBB15_102:                             ;   in Loop: Header=BB15_32 Depth=1
	s_andn2_saveexec_b64 s[0:1], s[12:13]
	s_or_b64 exec, exec, s[0:1]
	v_fma_mixlo_f16 v11, v1, v13, 0 op_sel:[0,1,0] op_sel_hi:[0,1,0]
	v_mul_f16_sdwa v11, v17, v11 dst_sel:DWORD dst_unused:UNUSED_PAD src0_sel:WORD_1 src1_sel:DWORD
	v_cvt_f32_f16_e32 v11, v11
	v_add_u32_e32 v12, 6, v21
	global_store_byte v12, v10, s[2:3]
	v_mul_f32_e32 v10, v24, v11
	v_min_f32_e32 v10, 0x43600000, v10
	v_max_f32_e32 v12, 0xc3600000, v10
	v_and_b32_e32 v18, 0x7f800000, v12
	v_or_b32_sdwa v10, v12, s24 dst_sel:DWORD dst_unused:UNUSED_PAD src0_sel:BYTE_3 src1_sel:DWORD
	v_cmp_ne_u64_e32 vcc, s[6:7], v[18:19]
	s_and_saveexec_b64 s[0:1], vcc
	s_xor_b64 s[12:13], exec, s[0:1]
	s_cbranch_execz .LBB15_112
; %bb.103:                              ;   in Loop: Header=BB15_32 Depth=1
	v_and_b32_e32 v18, 0x7fffffff, v12
	v_cmp_gt_u64_e32 vcc, s[10:11], v[18:19]
	s_and_saveexec_b64 s[0:1], vcc
	s_xor_b64 s[14:15], exec, s[0:1]
	s_cbranch_execz .LBB15_111
; %bb.104:                              ;   in Loop: Header=BB15_32 Depth=1
	v_cmp_ne_u32_e32 vcc, 0, v12
	v_mov_b32_e32 v10, 0
	s_and_saveexec_b64 s[16:17], vcc
	s_cbranch_execz .LBB15_110
; %bb.105:                              ;   in Loop: Header=BB15_32 Depth=1
	v_bfe_u32 v11, v12, 23, 8
	v_and_b32_e32 v10, 0x7fffff, v12
	v_sub_u32_e64 v13, s25, v11 clamp
	v_cmp_eq_u32_e32 vcc, 0, v11
	v_or_b32_e32 v14, 0x800000, v10
	v_cndmask_b32_e32 v13, v13, v25, vcc
	v_cndmask_b32_e32 v18, v14, v10, vcc
	v_add_u32_e32 v10, 20, v13
	v_add_u32_e32 v16, 0xffffff89, v11
	v_lshlrev_b64 v[10:11], v10, -1
	v_not_b32_e32 v10, v10
	v_add_u32_e32 v14, 19, v13
	v_and_b32_e32 v10, v18, v10
	v_mov_b32_e32 v11, v19
	v_lshlrev_b64 v[14:15], v14, 1
	v_cmp_eq_u64_e64 s[0:1], v[10:11], v[14:15]
	v_lshrrev_b64 v[10:11], v13, v[18:19]
	v_and_b32_e32 v18, 0x100000, v10
	v_cndmask_b32_e32 v14, v16, v26, vcc
	v_cmp_eq_u64_e32 vcc, 0, v[18:19]
	v_lshrrev_b32_e32 v15, 23, v10
	s_and_b64 vcc, vcc, s[0:1]
	v_add3_u32 v14, v14, v13, v15
	v_subbrev_co_u32_e32 v13, vcc, 0, v10, vcc
	v_and_b32_e32 v13, 0xfffff, v13
	v_add_co_u32_e32 v10, vcc, v13, v10
	v_add_u32_e32 v15, -1, v14
	v_addc_co_u32_e32 v11, vcc, 0, v11, vcc
	v_cmp_ne_u32_e32 vcc, 0, v15
                                        ; implicit-def: $vgpr13
	s_and_saveexec_b64 s[0:1], vcc
	s_xor_b64 s[0:1], exec, s[0:1]
; %bb.106:                              ;   in Loop: Header=BB15_32 Depth=1
	v_and_b32_e32 v18, 0x1000000, v10
	v_cmp_eq_u64_e32 vcc, 0, v[18:19]
	v_cndmask_b32_e32 v13, v14, v15, vcc
	v_bfe_u32 v14, v10, 24, 1
	v_lshrrev_b64 v[10:11], v14, v[10:11]
; %bb.107:                              ;   in Loop: Header=BB15_32 Depth=1
	s_andn2_saveexec_b64 s[0:1], s[0:1]
; %bb.108:                              ;   in Loop: Header=BB15_32 Depth=1
	v_bfe_u32 v13, v10, 23, 1
; %bb.109:                              ;   in Loop: Header=BB15_32 Depth=1
	s_or_b64 exec, exec, s[0:1]
	v_lshrrev_b64 v[10:11], 20, v[10:11]
	v_cmp_gt_i32_e32 vcc, 16, v13
	v_and_b32_sdwa v12, v12, s26 dst_sel:DWORD dst_unused:UNUSED_PAD src0_sel:BYTE_3 src1_sel:DWORD
	v_min_i32_e32 v14, 15, v13
	v_cndmask_b32_e32 v11, 0, v11, vcc
	v_cndmask_b32_e32 v10, 7, v10, vcc
	v_cmp_eq_u32_e32 vcc, 0, v13
	v_cmp_eq_u64_e64 s[0:1], 0, v[10:11]
	v_lshl_or_b32 v11, v14, 3, v12
	v_and_or_b32 v10, v10, 7, v11
	s_and_b64 s[0:1], vcc, s[0:1]
	v_cndmask_b32_e64 v10, v10, 0, s[0:1]
.LBB15_110:                             ;   in Loop: Header=BB15_32 Depth=1
	s_or_b64 exec, exec, s[16:17]
.LBB15_111:                             ;   in Loop: Header=BB15_32 Depth=1
	s_andn2_saveexec_b64 s[0:1], s[14:15]
	s_or_b64 exec, exec, s[0:1]
.LBB15_112:                             ;   in Loop: Header=BB15_32 Depth=1
	s_andn2_saveexec_b64 s[0:1], s[12:13]
	s_or_b64 exec, exec, s[0:1]
	s_waitcnt vmcnt(8)
	v_fma_mixlo_f16 v11, v1, v2, 0 op_sel_hi:[0,1,0]
	s_waitcnt vmcnt(7)
	v_mul_f16_e32 v11, v6, v11
	v_cvt_f32_f16_e32 v11, v11
	v_add_u32_e32 v12, 7, v21
	global_store_byte v12, v10, s[2:3]
	v_mul_f32_e32 v10, v24, v11
	v_min_f32_e32 v10, 0x43600000, v10
	v_max_f32_e32 v12, 0xc3600000, v10
	v_and_b32_e32 v18, 0x7f800000, v12
	v_or_b32_sdwa v10, v12, s24 dst_sel:DWORD dst_unused:UNUSED_PAD src0_sel:BYTE_3 src1_sel:DWORD
	v_cmp_ne_u64_e32 vcc, s[6:7], v[18:19]
	s_and_saveexec_b64 s[0:1], vcc
	s_xor_b64 s[12:13], exec, s[0:1]
	s_cbranch_execz .LBB15_122
; %bb.113:                              ;   in Loop: Header=BB15_32 Depth=1
	v_and_b32_e32 v18, 0x7fffffff, v12
	v_cmp_gt_u64_e32 vcc, s[10:11], v[18:19]
	s_and_saveexec_b64 s[0:1], vcc
	s_xor_b64 s[14:15], exec, s[0:1]
	s_cbranch_execz .LBB15_121
; %bb.114:                              ;   in Loop: Header=BB15_32 Depth=1
	v_cmp_ne_u32_e32 vcc, 0, v12
	v_mov_b32_e32 v10, 0
	s_and_saveexec_b64 s[16:17], vcc
	s_cbranch_execz .LBB15_120
; %bb.115:                              ;   in Loop: Header=BB15_32 Depth=1
	v_bfe_u32 v11, v12, 23, 8
	v_and_b32_e32 v10, 0x7fffff, v12
	v_sub_u32_e64 v13, s25, v11 clamp
	v_cmp_eq_u32_e32 vcc, 0, v11
	v_or_b32_e32 v14, 0x800000, v10
	v_cndmask_b32_e32 v13, v13, v25, vcc
	v_cndmask_b32_e32 v18, v14, v10, vcc
	v_add_u32_e32 v10, 20, v13
	v_add_u32_e32 v16, 0xffffff89, v11
	v_lshlrev_b64 v[10:11], v10, -1
	v_not_b32_e32 v10, v10
	v_add_u32_e32 v14, 19, v13
	v_and_b32_e32 v10, v18, v10
	v_mov_b32_e32 v11, v19
	v_lshlrev_b64 v[14:15], v14, 1
	v_cmp_eq_u64_e64 s[0:1], v[10:11], v[14:15]
	v_lshrrev_b64 v[10:11], v13, v[18:19]
	v_and_b32_e32 v18, 0x100000, v10
	v_cndmask_b32_e32 v14, v16, v26, vcc
	v_cmp_eq_u64_e32 vcc, 0, v[18:19]
	v_lshrrev_b32_e32 v15, 23, v10
	s_and_b64 vcc, vcc, s[0:1]
	v_add3_u32 v14, v14, v13, v15
	v_subbrev_co_u32_e32 v13, vcc, 0, v10, vcc
	v_and_b32_e32 v13, 0xfffff, v13
	v_add_co_u32_e32 v10, vcc, v13, v10
	v_add_u32_e32 v15, -1, v14
	v_addc_co_u32_e32 v11, vcc, 0, v11, vcc
	v_cmp_ne_u32_e32 vcc, 0, v15
                                        ; implicit-def: $vgpr13
	s_and_saveexec_b64 s[0:1], vcc
	s_xor_b64 s[0:1], exec, s[0:1]
; %bb.116:                              ;   in Loop: Header=BB15_32 Depth=1
	v_and_b32_e32 v18, 0x1000000, v10
	v_cmp_eq_u64_e32 vcc, 0, v[18:19]
	v_cndmask_b32_e32 v13, v14, v15, vcc
	v_bfe_u32 v14, v10, 24, 1
	v_lshrrev_b64 v[10:11], v14, v[10:11]
; %bb.117:                              ;   in Loop: Header=BB15_32 Depth=1
	s_andn2_saveexec_b64 s[0:1], s[0:1]
; %bb.118:                              ;   in Loop: Header=BB15_32 Depth=1
	v_bfe_u32 v13, v10, 23, 1
; %bb.119:                              ;   in Loop: Header=BB15_32 Depth=1
	s_or_b64 exec, exec, s[0:1]
	v_lshrrev_b64 v[10:11], 20, v[10:11]
	v_cmp_gt_i32_e32 vcc, 16, v13
	v_and_b32_sdwa v12, v12, s26 dst_sel:DWORD dst_unused:UNUSED_PAD src0_sel:BYTE_3 src1_sel:DWORD
	v_min_i32_e32 v14, 15, v13
	v_cndmask_b32_e32 v11, 0, v11, vcc
	v_cndmask_b32_e32 v10, 7, v10, vcc
	v_cmp_eq_u32_e32 vcc, 0, v13
	v_cmp_eq_u64_e64 s[0:1], 0, v[10:11]
	v_lshl_or_b32 v11, v14, 3, v12
	v_and_or_b32 v10, v10, 7, v11
	s_and_b64 s[0:1], vcc, s[0:1]
	v_cndmask_b32_e64 v10, v10, 0, s[0:1]
.LBB15_120:                             ;   in Loop: Header=BB15_32 Depth=1
	s_or_b64 exec, exec, s[16:17]
.LBB15_121:                             ;   in Loop: Header=BB15_32 Depth=1
	s_andn2_saveexec_b64 s[0:1], s[14:15]
	s_or_b64 exec, exec, s[0:1]
.LBB15_122:                             ;   in Loop: Header=BB15_32 Depth=1
	s_andn2_saveexec_b64 s[0:1], s[12:13]
	s_or_b64 exec, exec, s[0:1]
	v_fma_mixlo_f16 v2, v1, v2, 0 op_sel:[0,1,0] op_sel_hi:[0,1,0]
	v_mul_f16_sdwa v2, v6, v2 dst_sel:DWORD dst_unused:UNUSED_PAD src0_sel:WORD_1 src1_sel:DWORD
	v_cvt_f32_f16_e32 v2, v2
	v_add_u32_e32 v6, 8, v21
	global_store_byte v6, v10, s[2:3]
	v_mul_f32_e32 v2, v24, v2
	v_min_f32_e32 v2, 0x43600000, v2
	v_max_f32_e32 v2, 0xc3600000, v2
	v_and_b32_e32 v18, 0x7f800000, v2
	v_or_b32_sdwa v6, v2, s24 dst_sel:DWORD dst_unused:UNUSED_PAD src0_sel:BYTE_3 src1_sel:DWORD
	v_cmp_ne_u64_e32 vcc, s[6:7], v[18:19]
	s_and_saveexec_b64 s[0:1], vcc
	s_xor_b64 s[12:13], exec, s[0:1]
	s_cbranch_execz .LBB15_132
; %bb.123:                              ;   in Loop: Header=BB15_32 Depth=1
	v_and_b32_e32 v18, 0x7fffffff, v2
	v_cmp_gt_u64_e32 vcc, s[10:11], v[18:19]
	s_and_saveexec_b64 s[0:1], vcc
	s_xor_b64 s[14:15], exec, s[0:1]
	s_cbranch_execz .LBB15_131
; %bb.124:                              ;   in Loop: Header=BB15_32 Depth=1
	v_cmp_ne_u32_e32 vcc, 0, v2
	v_mov_b32_e32 v6, 0
	s_and_saveexec_b64 s[16:17], vcc
	s_cbranch_execz .LBB15_130
; %bb.125:                              ;   in Loop: Header=BB15_32 Depth=1
	v_bfe_u32 v10, v2, 23, 8
	v_and_b32_e32 v6, 0x7fffff, v2
	v_sub_u32_e64 v11, s25, v10 clamp
	v_cmp_eq_u32_e32 vcc, 0, v10
	v_or_b32_e32 v12, 0x800000, v6
	v_cndmask_b32_e32 v15, v11, v25, vcc
	v_cndmask_b32_e32 v18, v12, v6, vcc
	v_add_u32_e32 v6, 20, v15
	v_add_u32_e32 v14, 0xffffff89, v10
	v_lshlrev_b64 v[10:11], v6, -1
	v_not_b32_e32 v6, v10
	v_and_b32_e32 v10, v18, v6
	v_add_u32_e32 v6, 19, v15
	v_mov_b32_e32 v11, v19
	v_lshlrev_b64 v[12:13], v6, 1
	v_cmp_eq_u64_e64 s[0:1], v[10:11], v[12:13]
	v_lshrrev_b64 v[10:11], v15, v[18:19]
	v_and_b32_e32 v18, 0x100000, v10
	v_cndmask_b32_e32 v6, v14, v26, vcc
	v_cmp_eq_u64_e32 vcc, 0, v[18:19]
	v_lshrrev_b32_e32 v12, 23, v10
	s_and_b64 vcc, vcc, s[0:1]
	v_add3_u32 v12, v6, v15, v12
	v_subbrev_co_u32_e32 v6, vcc, 0, v10, vcc
	v_and_b32_e32 v6, 0xfffff, v6
	v_add_co_u32_e32 v10, vcc, v6, v10
	v_add_u32_e32 v13, -1, v12
	v_addc_co_u32_e32 v11, vcc, 0, v11, vcc
	v_cmp_ne_u32_e32 vcc, 0, v13
                                        ; implicit-def: $vgpr6
	s_and_saveexec_b64 s[0:1], vcc
	s_xor_b64 s[0:1], exec, s[0:1]
; %bb.126:                              ;   in Loop: Header=BB15_32 Depth=1
	v_and_b32_e32 v18, 0x1000000, v10
	v_cmp_eq_u64_e32 vcc, 0, v[18:19]
	v_cndmask_b32_e32 v6, v12, v13, vcc
	v_bfe_u32 v12, v10, 24, 1
	v_lshrrev_b64 v[10:11], v12, v[10:11]
; %bb.127:                              ;   in Loop: Header=BB15_32 Depth=1
	s_andn2_saveexec_b64 s[0:1], s[0:1]
; %bb.128:                              ;   in Loop: Header=BB15_32 Depth=1
	v_bfe_u32 v6, v10, 23, 1
; %bb.129:                              ;   in Loop: Header=BB15_32 Depth=1
	s_or_b64 exec, exec, s[0:1]
	v_lshrrev_b64 v[10:11], 20, v[10:11]
	v_cmp_gt_i32_e32 vcc, 16, v6
	v_and_b32_sdwa v2, v2, s26 dst_sel:DWORD dst_unused:UNUSED_PAD src0_sel:BYTE_3 src1_sel:DWORD
	v_min_i32_e32 v12, 15, v6
	v_cndmask_b32_e32 v11, 0, v11, vcc
	v_cndmask_b32_e32 v10, 7, v10, vcc
	v_cmp_eq_u32_e32 vcc, 0, v6
	v_cmp_eq_u64_e64 s[0:1], 0, v[10:11]
	v_lshl_or_b32 v2, v12, 3, v2
	v_and_or_b32 v2, v10, 7, v2
	s_and_b64 s[0:1], vcc, s[0:1]
	v_cndmask_b32_e64 v6, v2, 0, s[0:1]
.LBB15_130:                             ;   in Loop: Header=BB15_32 Depth=1
	s_or_b64 exec, exec, s[16:17]
.LBB15_131:                             ;   in Loop: Header=BB15_32 Depth=1
	s_andn2_saveexec_b64 s[0:1], s[14:15]
	s_or_b64 exec, exec, s[0:1]
.LBB15_132:                             ;   in Loop: Header=BB15_32 Depth=1
	s_andn2_saveexec_b64 s[0:1], s[12:13]
	s_or_b64 exec, exec, s[0:1]
	v_fma_mixlo_f16 v2, v1, v3, 0 op_sel_hi:[0,1,0]
	v_mul_f16_e32 v2, v7, v2
	v_cvt_f32_f16_e32 v2, v2
	v_add_u32_e32 v10, 9, v21
	global_store_byte v10, v6, s[2:3]
	v_mul_f32_e32 v2, v24, v2
	v_min_f32_e32 v2, 0x43600000, v2
	v_max_f32_e32 v2, 0xc3600000, v2
	v_and_b32_e32 v18, 0x7f800000, v2
	v_or_b32_sdwa v6, v2, s24 dst_sel:DWORD dst_unused:UNUSED_PAD src0_sel:BYTE_3 src1_sel:DWORD
	v_cmp_ne_u64_e32 vcc, s[6:7], v[18:19]
	s_and_saveexec_b64 s[0:1], vcc
	s_xor_b64 s[12:13], exec, s[0:1]
	s_cbranch_execz .LBB15_142
; %bb.133:                              ;   in Loop: Header=BB15_32 Depth=1
	v_and_b32_e32 v18, 0x7fffffff, v2
	v_cmp_gt_u64_e32 vcc, s[10:11], v[18:19]
	s_and_saveexec_b64 s[0:1], vcc
	s_xor_b64 s[14:15], exec, s[0:1]
	s_cbranch_execz .LBB15_141
; %bb.134:                              ;   in Loop: Header=BB15_32 Depth=1
	v_cmp_ne_u32_e32 vcc, 0, v2
	v_mov_b32_e32 v6, 0
	s_and_saveexec_b64 s[16:17], vcc
	s_cbranch_execz .LBB15_140
; %bb.135:                              ;   in Loop: Header=BB15_32 Depth=1
	v_bfe_u32 v10, v2, 23, 8
	v_and_b32_e32 v6, 0x7fffff, v2
	v_sub_u32_e64 v11, s25, v10 clamp
	v_cmp_eq_u32_e32 vcc, 0, v10
	v_or_b32_e32 v12, 0x800000, v6
	v_cndmask_b32_e32 v15, v11, v25, vcc
	v_cndmask_b32_e32 v18, v12, v6, vcc
	v_add_u32_e32 v6, 20, v15
	v_add_u32_e32 v14, 0xffffff89, v10
	v_lshlrev_b64 v[10:11], v6, -1
	v_not_b32_e32 v6, v10
	v_and_b32_e32 v10, v18, v6
	v_add_u32_e32 v6, 19, v15
	v_mov_b32_e32 v11, v19
	v_lshlrev_b64 v[12:13], v6, 1
	v_cmp_eq_u64_e64 s[0:1], v[10:11], v[12:13]
	v_lshrrev_b64 v[10:11], v15, v[18:19]
	v_and_b32_e32 v18, 0x100000, v10
	v_cndmask_b32_e32 v6, v14, v26, vcc
	v_cmp_eq_u64_e32 vcc, 0, v[18:19]
	v_lshrrev_b32_e32 v12, 23, v10
	s_and_b64 vcc, vcc, s[0:1]
	v_add3_u32 v12, v6, v15, v12
	v_subbrev_co_u32_e32 v6, vcc, 0, v10, vcc
	v_and_b32_e32 v6, 0xfffff, v6
	v_add_co_u32_e32 v10, vcc, v6, v10
	v_add_u32_e32 v13, -1, v12
	v_addc_co_u32_e32 v11, vcc, 0, v11, vcc
	v_cmp_ne_u32_e32 vcc, 0, v13
                                        ; implicit-def: $vgpr6
	s_and_saveexec_b64 s[0:1], vcc
	s_xor_b64 s[0:1], exec, s[0:1]
; %bb.136:                              ;   in Loop: Header=BB15_32 Depth=1
	v_and_b32_e32 v18, 0x1000000, v10
	v_cmp_eq_u64_e32 vcc, 0, v[18:19]
	v_cndmask_b32_e32 v6, v12, v13, vcc
	v_bfe_u32 v12, v10, 24, 1
	v_lshrrev_b64 v[10:11], v12, v[10:11]
; %bb.137:                              ;   in Loop: Header=BB15_32 Depth=1
	s_andn2_saveexec_b64 s[0:1], s[0:1]
; %bb.138:                              ;   in Loop: Header=BB15_32 Depth=1
	v_bfe_u32 v6, v10, 23, 1
; %bb.139:                              ;   in Loop: Header=BB15_32 Depth=1
	s_or_b64 exec, exec, s[0:1]
	v_lshrrev_b64 v[10:11], 20, v[10:11]
	v_cmp_gt_i32_e32 vcc, 16, v6
	v_and_b32_sdwa v2, v2, s26 dst_sel:DWORD dst_unused:UNUSED_PAD src0_sel:BYTE_3 src1_sel:DWORD
	v_min_i32_e32 v12, 15, v6
	v_cndmask_b32_e32 v11, 0, v11, vcc
	v_cndmask_b32_e32 v10, 7, v10, vcc
	v_cmp_eq_u32_e32 vcc, 0, v6
	v_cmp_eq_u64_e64 s[0:1], 0, v[10:11]
	v_lshl_or_b32 v2, v12, 3, v2
	v_and_or_b32 v2, v10, 7, v2
	s_and_b64 s[0:1], vcc, s[0:1]
	v_cndmask_b32_e64 v6, v2, 0, s[0:1]
.LBB15_140:                             ;   in Loop: Header=BB15_32 Depth=1
	s_or_b64 exec, exec, s[16:17]
.LBB15_141:                             ;   in Loop: Header=BB15_32 Depth=1
	s_andn2_saveexec_b64 s[0:1], s[14:15]
	s_or_b64 exec, exec, s[0:1]
.LBB15_142:                             ;   in Loop: Header=BB15_32 Depth=1
	s_andn2_saveexec_b64 s[0:1], s[12:13]
	s_or_b64 exec, exec, s[0:1]
	v_fma_mixlo_f16 v2, v1, v3, 0 op_sel:[0,1,0] op_sel_hi:[0,1,0]
	v_mul_f16_sdwa v2, v7, v2 dst_sel:DWORD dst_unused:UNUSED_PAD src0_sel:WORD_1 src1_sel:DWORD
	v_cvt_f32_f16_e32 v2, v2
	v_add_u32_e32 v3, 10, v21
	global_store_byte v3, v6, s[2:3]
	v_mul_f32_e32 v2, v24, v2
	v_min_f32_e32 v2, 0x43600000, v2
	v_max_f32_e32 v6, 0xc3600000, v2
	v_and_b32_e32 v18, 0x7f800000, v6
	v_or_b32_sdwa v2, v6, s24 dst_sel:DWORD dst_unused:UNUSED_PAD src0_sel:BYTE_3 src1_sel:DWORD
	v_cmp_ne_u64_e32 vcc, s[6:7], v[18:19]
	s_and_saveexec_b64 s[0:1], vcc
	s_xor_b64 s[12:13], exec, s[0:1]
	s_cbranch_execz .LBB15_152
; %bb.143:                              ;   in Loop: Header=BB15_32 Depth=1
	v_and_b32_e32 v18, 0x7fffffff, v6
	v_cmp_gt_u64_e32 vcc, s[10:11], v[18:19]
	s_and_saveexec_b64 s[0:1], vcc
	s_xor_b64 s[14:15], exec, s[0:1]
	s_cbranch_execz .LBB15_151
; %bb.144:                              ;   in Loop: Header=BB15_32 Depth=1
	v_cmp_ne_u32_e32 vcc, 0, v6
	v_mov_b32_e32 v2, 0
	s_and_saveexec_b64 s[16:17], vcc
	s_cbranch_execz .LBB15_150
; %bb.145:                              ;   in Loop: Header=BB15_32 Depth=1
	v_bfe_u32 v3, v6, 23, 8
	v_and_b32_e32 v2, 0x7fffff, v6
	v_sub_u32_e64 v7, s25, v3 clamp
	v_cmp_eq_u32_e32 vcc, 0, v3
	v_or_b32_e32 v10, 0x800000, v2
	v_cndmask_b32_e32 v7, v7, v25, vcc
	v_cndmask_b32_e32 v18, v10, v2, vcc
	v_add_u32_e32 v2, 20, v7
	v_add_u32_e32 v12, 0xffffff89, v3
	v_lshlrev_b64 v[2:3], v2, -1
	v_not_b32_e32 v2, v2
	v_add_u32_e32 v10, 19, v7
	v_and_b32_e32 v2, v18, v2
	v_mov_b32_e32 v3, v19
	v_lshlrev_b64 v[10:11], v10, 1
	v_cmp_eq_u64_e64 s[0:1], v[2:3], v[10:11]
	v_lshrrev_b64 v[2:3], v7, v[18:19]
	v_and_b32_e32 v18, 0x100000, v2
	v_cndmask_b32_e32 v10, v12, v26, vcc
	v_cmp_eq_u64_e32 vcc, 0, v[18:19]
	v_lshrrev_b32_e32 v11, 23, v2
	s_and_b64 vcc, vcc, s[0:1]
	v_add3_u32 v10, v10, v7, v11
	v_subbrev_co_u32_e32 v7, vcc, 0, v2, vcc
	v_and_b32_e32 v7, 0xfffff, v7
	v_add_co_u32_e32 v2, vcc, v7, v2
	v_add_u32_e32 v11, -1, v10
	v_addc_co_u32_e32 v3, vcc, 0, v3, vcc
	v_cmp_ne_u32_e32 vcc, 0, v11
                                        ; implicit-def: $vgpr7
	s_and_saveexec_b64 s[0:1], vcc
	s_xor_b64 s[0:1], exec, s[0:1]
; %bb.146:                              ;   in Loop: Header=BB15_32 Depth=1
	v_and_b32_e32 v18, 0x1000000, v2
	v_cmp_eq_u64_e32 vcc, 0, v[18:19]
	v_cndmask_b32_e32 v7, v10, v11, vcc
	v_bfe_u32 v10, v2, 24, 1
	v_lshrrev_b64 v[2:3], v10, v[2:3]
; %bb.147:                              ;   in Loop: Header=BB15_32 Depth=1
	s_andn2_saveexec_b64 s[0:1], s[0:1]
; %bb.148:                              ;   in Loop: Header=BB15_32 Depth=1
	v_bfe_u32 v7, v2, 23, 1
; %bb.149:                              ;   in Loop: Header=BB15_32 Depth=1
	s_or_b64 exec, exec, s[0:1]
	v_lshrrev_b64 v[2:3], 20, v[2:3]
	v_cmp_gt_i32_e32 vcc, 16, v7
	v_and_b32_sdwa v6, v6, s26 dst_sel:DWORD dst_unused:UNUSED_PAD src0_sel:BYTE_3 src1_sel:DWORD
	v_min_i32_e32 v10, 15, v7
	v_cndmask_b32_e32 v3, 0, v3, vcc
	v_cndmask_b32_e32 v2, 7, v2, vcc
	v_cmp_eq_u32_e32 vcc, 0, v7
	v_cmp_eq_u64_e64 s[0:1], 0, v[2:3]
	v_lshl_or_b32 v3, v10, 3, v6
	v_and_or_b32 v2, v2, 7, v3
	s_and_b64 s[0:1], vcc, s[0:1]
	v_cndmask_b32_e64 v2, v2, 0, s[0:1]
.LBB15_150:                             ;   in Loop: Header=BB15_32 Depth=1
	s_or_b64 exec, exec, s[16:17]
.LBB15_151:                             ;   in Loop: Header=BB15_32 Depth=1
	s_andn2_saveexec_b64 s[0:1], s[14:15]
	s_or_b64 exec, exec, s[0:1]
.LBB15_152:                             ;   in Loop: Header=BB15_32 Depth=1
	s_andn2_saveexec_b64 s[0:1], s[12:13]
	s_or_b64 exec, exec, s[0:1]
	v_fma_mixlo_f16 v3, v1, v4, 0 op_sel_hi:[0,1,0]
	v_mul_f16_e32 v3, v8, v3
	v_cvt_f32_f16_e32 v3, v3
	v_add_u32_e32 v6, 11, v21
	global_store_byte v6, v2, s[2:3]
	v_mul_f32_e32 v2, v24, v3
	v_min_f32_e32 v2, 0x43600000, v2
	v_max_f32_e32 v6, 0xc3600000, v2
	v_and_b32_e32 v18, 0x7f800000, v6
	v_or_b32_sdwa v2, v6, s24 dst_sel:DWORD dst_unused:UNUSED_PAD src0_sel:BYTE_3 src1_sel:DWORD
	v_cmp_ne_u64_e32 vcc, s[6:7], v[18:19]
	s_and_saveexec_b64 s[0:1], vcc
	s_xor_b64 s[12:13], exec, s[0:1]
	s_cbranch_execz .LBB15_162
; %bb.153:                              ;   in Loop: Header=BB15_32 Depth=1
	v_and_b32_e32 v18, 0x7fffffff, v6
	v_cmp_gt_u64_e32 vcc, s[10:11], v[18:19]
	s_and_saveexec_b64 s[0:1], vcc
	s_xor_b64 s[14:15], exec, s[0:1]
	s_cbranch_execz .LBB15_161
; %bb.154:                              ;   in Loop: Header=BB15_32 Depth=1
	v_cmp_ne_u32_e32 vcc, 0, v6
	v_mov_b32_e32 v2, 0
	s_and_saveexec_b64 s[16:17], vcc
	s_cbranch_execz .LBB15_160
; %bb.155:                              ;   in Loop: Header=BB15_32 Depth=1
	v_bfe_u32 v3, v6, 23, 8
	v_and_b32_e32 v2, 0x7fffff, v6
	v_sub_u32_e64 v7, s25, v3 clamp
	v_cmp_eq_u32_e32 vcc, 0, v3
	v_or_b32_e32 v10, 0x800000, v2
	v_cndmask_b32_e32 v7, v7, v25, vcc
	v_cndmask_b32_e32 v18, v10, v2, vcc
	v_add_u32_e32 v2, 20, v7
	v_add_u32_e32 v12, 0xffffff89, v3
	v_lshlrev_b64 v[2:3], v2, -1
	v_not_b32_e32 v2, v2
	v_add_u32_e32 v10, 19, v7
	v_and_b32_e32 v2, v18, v2
	v_mov_b32_e32 v3, v19
	v_lshlrev_b64 v[10:11], v10, 1
	v_cmp_eq_u64_e64 s[0:1], v[2:3], v[10:11]
	v_lshrrev_b64 v[2:3], v7, v[18:19]
	v_and_b32_e32 v18, 0x100000, v2
	v_cndmask_b32_e32 v10, v12, v26, vcc
	v_cmp_eq_u64_e32 vcc, 0, v[18:19]
	v_lshrrev_b32_e32 v11, 23, v2
	s_and_b64 vcc, vcc, s[0:1]
	v_add3_u32 v10, v10, v7, v11
	v_subbrev_co_u32_e32 v7, vcc, 0, v2, vcc
	v_and_b32_e32 v7, 0xfffff, v7
	v_add_co_u32_e32 v2, vcc, v7, v2
	v_add_u32_e32 v11, -1, v10
	v_addc_co_u32_e32 v3, vcc, 0, v3, vcc
	v_cmp_ne_u32_e32 vcc, 0, v11
                                        ; implicit-def: $vgpr7
	s_and_saveexec_b64 s[0:1], vcc
	s_xor_b64 s[0:1], exec, s[0:1]
; %bb.156:                              ;   in Loop: Header=BB15_32 Depth=1
	v_and_b32_e32 v18, 0x1000000, v2
	v_cmp_eq_u64_e32 vcc, 0, v[18:19]
	v_cndmask_b32_e32 v7, v10, v11, vcc
	v_bfe_u32 v10, v2, 24, 1
	v_lshrrev_b64 v[2:3], v10, v[2:3]
; %bb.157:                              ;   in Loop: Header=BB15_32 Depth=1
	s_andn2_saveexec_b64 s[0:1], s[0:1]
; %bb.158:                              ;   in Loop: Header=BB15_32 Depth=1
	v_bfe_u32 v7, v2, 23, 1
; %bb.159:                              ;   in Loop: Header=BB15_32 Depth=1
	s_or_b64 exec, exec, s[0:1]
	v_lshrrev_b64 v[2:3], 20, v[2:3]
	v_cmp_gt_i32_e32 vcc, 16, v7
	v_and_b32_sdwa v6, v6, s26 dst_sel:DWORD dst_unused:UNUSED_PAD src0_sel:BYTE_3 src1_sel:DWORD
	v_min_i32_e32 v10, 15, v7
	v_cndmask_b32_e32 v3, 0, v3, vcc
	v_cndmask_b32_e32 v2, 7, v2, vcc
	v_cmp_eq_u32_e32 vcc, 0, v7
	v_cmp_eq_u64_e64 s[0:1], 0, v[2:3]
	v_lshl_or_b32 v3, v10, 3, v6
	v_and_or_b32 v2, v2, 7, v3
	s_and_b64 s[0:1], vcc, s[0:1]
	v_cndmask_b32_e64 v2, v2, 0, s[0:1]
.LBB15_160:                             ;   in Loop: Header=BB15_32 Depth=1
	s_or_b64 exec, exec, s[16:17]
.LBB15_161:                             ;   in Loop: Header=BB15_32 Depth=1
	s_andn2_saveexec_b64 s[0:1], s[14:15]
	s_or_b64 exec, exec, s[0:1]
.LBB15_162:                             ;   in Loop: Header=BB15_32 Depth=1
	s_andn2_saveexec_b64 s[0:1], s[12:13]
	s_or_b64 exec, exec, s[0:1]
	v_fma_mixlo_f16 v3, v1, v4, 0 op_sel:[0,1,0] op_sel_hi:[0,1,0]
	v_mul_f16_sdwa v3, v8, v3 dst_sel:DWORD dst_unused:UNUSED_PAD src0_sel:WORD_1 src1_sel:DWORD
	v_cvt_f32_f16_e32 v3, v3
	v_add_u32_e32 v4, 12, v21
	global_store_byte v4, v2, s[2:3]
	v_mul_f32_e32 v2, v24, v3
	v_min_f32_e32 v2, 0x43600000, v2
	v_max_f32_e32 v4, 0xc3600000, v2
	v_and_b32_e32 v18, 0x7f800000, v4
	v_or_b32_sdwa v2, v4, s24 dst_sel:DWORD dst_unused:UNUSED_PAD src0_sel:BYTE_3 src1_sel:DWORD
	v_cmp_ne_u64_e32 vcc, s[6:7], v[18:19]
	s_and_saveexec_b64 s[0:1], vcc
	s_xor_b64 s[12:13], exec, s[0:1]
	s_cbranch_execz .LBB15_172
; %bb.163:                              ;   in Loop: Header=BB15_32 Depth=1
	v_and_b32_e32 v18, 0x7fffffff, v4
	v_cmp_gt_u64_e32 vcc, s[10:11], v[18:19]
	s_and_saveexec_b64 s[0:1], vcc
	s_xor_b64 s[14:15], exec, s[0:1]
	s_cbranch_execz .LBB15_171
; %bb.164:                              ;   in Loop: Header=BB15_32 Depth=1
	v_cmp_ne_u32_e32 vcc, 0, v4
	v_mov_b32_e32 v2, 0
	s_and_saveexec_b64 s[16:17], vcc
	s_cbranch_execz .LBB15_170
; %bb.165:                              ;   in Loop: Header=BB15_32 Depth=1
	v_bfe_u32 v3, v4, 23, 8
	v_and_b32_e32 v2, 0x7fffff, v4
	v_sub_u32_e64 v6, s25, v3 clamp
	v_cmp_eq_u32_e32 vcc, 0, v3
	v_or_b32_e32 v7, 0x800000, v2
	v_cndmask_b32_e32 v10, v6, v25, vcc
	v_cndmask_b32_e32 v18, v7, v2, vcc
	v_add_u32_e32 v2, 20, v10
	v_add_u32_e32 v8, 0xffffff89, v3
	v_lshlrev_b64 v[2:3], v2, -1
	v_not_b32_e32 v2, v2
	v_add_u32_e32 v6, 19, v10
	v_and_b32_e32 v2, v18, v2
	v_mov_b32_e32 v3, v19
	v_lshlrev_b64 v[6:7], v6, 1
	v_cmp_eq_u64_e64 s[0:1], v[2:3], v[6:7]
	v_lshrrev_b64 v[2:3], v10, v[18:19]
	v_and_b32_e32 v18, 0x100000, v2
	v_cndmask_b32_e32 v6, v8, v26, vcc
	v_cmp_eq_u64_e32 vcc, 0, v[18:19]
	v_lshrrev_b32_e32 v7, 23, v2
	s_and_b64 vcc, vcc, s[0:1]
	v_add3_u32 v7, v6, v10, v7
	v_subbrev_co_u32_e32 v6, vcc, 0, v2, vcc
	v_and_b32_e32 v6, 0xfffff, v6
	v_add_co_u32_e32 v2, vcc, v6, v2
	v_add_u32_e32 v8, -1, v7
	v_addc_co_u32_e32 v3, vcc, 0, v3, vcc
	v_cmp_ne_u32_e32 vcc, 0, v8
                                        ; implicit-def: $vgpr6
	s_and_saveexec_b64 s[0:1], vcc
	s_xor_b64 s[0:1], exec, s[0:1]
; %bb.166:                              ;   in Loop: Header=BB15_32 Depth=1
	v_and_b32_e32 v18, 0x1000000, v2
	v_cmp_eq_u64_e32 vcc, 0, v[18:19]
	v_cndmask_b32_e32 v6, v7, v8, vcc
	v_bfe_u32 v7, v2, 24, 1
	v_lshrrev_b64 v[2:3], v7, v[2:3]
; %bb.167:                              ;   in Loop: Header=BB15_32 Depth=1
	s_andn2_saveexec_b64 s[0:1], s[0:1]
; %bb.168:                              ;   in Loop: Header=BB15_32 Depth=1
	v_bfe_u32 v6, v2, 23, 1
; %bb.169:                              ;   in Loop: Header=BB15_32 Depth=1
	s_or_b64 exec, exec, s[0:1]
	v_lshrrev_b64 v[2:3], 20, v[2:3]
	v_cmp_gt_i32_e32 vcc, 16, v6
	v_and_b32_sdwa v4, v4, s26 dst_sel:DWORD dst_unused:UNUSED_PAD src0_sel:BYTE_3 src1_sel:DWORD
	v_min_i32_e32 v7, 15, v6
	v_cndmask_b32_e32 v3, 0, v3, vcc
	v_cndmask_b32_e32 v2, 7, v2, vcc
	v_cmp_eq_u32_e32 vcc, 0, v6
	v_cmp_eq_u64_e64 s[0:1], 0, v[2:3]
	v_lshl_or_b32 v3, v7, 3, v4
	v_and_or_b32 v2, v2, 7, v3
	s_and_b64 s[0:1], vcc, s[0:1]
	v_cndmask_b32_e64 v2, v2, 0, s[0:1]
.LBB15_170:                             ;   in Loop: Header=BB15_32 Depth=1
	s_or_b64 exec, exec, s[16:17]
.LBB15_171:                             ;   in Loop: Header=BB15_32 Depth=1
	s_andn2_saveexec_b64 s[0:1], s[14:15]
	s_or_b64 exec, exec, s[0:1]
.LBB15_172:                             ;   in Loop: Header=BB15_32 Depth=1
	s_andn2_saveexec_b64 s[0:1], s[12:13]
	s_or_b64 exec, exec, s[0:1]
	v_fma_mixlo_f16 v3, v1, v5, 0 op_sel_hi:[0,1,0]
	v_mul_f16_e32 v3, v9, v3
	v_cvt_f32_f16_e32 v3, v3
	v_add_u32_e32 v4, 13, v21
	global_store_byte v4, v2, s[2:3]
	v_mul_f32_e32 v2, v24, v3
	v_min_f32_e32 v2, 0x43600000, v2
	v_max_f32_e32 v4, 0xc3600000, v2
	v_and_b32_e32 v18, 0x7f800000, v4
	v_or_b32_sdwa v2, v4, s24 dst_sel:DWORD dst_unused:UNUSED_PAD src0_sel:BYTE_3 src1_sel:DWORD
	v_cmp_ne_u64_e32 vcc, s[6:7], v[18:19]
	s_and_saveexec_b64 s[0:1], vcc
	s_xor_b64 s[12:13], exec, s[0:1]
	s_cbranch_execz .LBB15_182
; %bb.173:                              ;   in Loop: Header=BB15_32 Depth=1
	v_and_b32_e32 v18, 0x7fffffff, v4
	v_cmp_gt_u64_e32 vcc, s[10:11], v[18:19]
	s_and_saveexec_b64 s[0:1], vcc
	s_xor_b64 s[14:15], exec, s[0:1]
	s_cbranch_execz .LBB15_181
; %bb.174:                              ;   in Loop: Header=BB15_32 Depth=1
	v_cmp_ne_u32_e32 vcc, 0, v4
	v_mov_b32_e32 v2, 0
	s_and_saveexec_b64 s[16:17], vcc
	s_cbranch_execz .LBB15_180
; %bb.175:                              ;   in Loop: Header=BB15_32 Depth=1
	v_bfe_u32 v3, v4, 23, 8
	v_and_b32_e32 v2, 0x7fffff, v4
	v_sub_u32_e64 v6, s25, v3 clamp
	v_cmp_eq_u32_e32 vcc, 0, v3
	v_or_b32_e32 v7, 0x800000, v2
	v_cndmask_b32_e32 v10, v6, v25, vcc
	v_cndmask_b32_e32 v18, v7, v2, vcc
	v_add_u32_e32 v2, 20, v10
	v_add_u32_e32 v8, 0xffffff89, v3
	v_lshlrev_b64 v[2:3], v2, -1
	v_not_b32_e32 v2, v2
	v_add_u32_e32 v6, 19, v10
	v_and_b32_e32 v2, v18, v2
	v_mov_b32_e32 v3, v19
	v_lshlrev_b64 v[6:7], v6, 1
	v_cmp_eq_u64_e64 s[0:1], v[2:3], v[6:7]
	v_lshrrev_b64 v[2:3], v10, v[18:19]
	v_and_b32_e32 v18, 0x100000, v2
	v_cndmask_b32_e32 v6, v8, v26, vcc
	v_cmp_eq_u64_e32 vcc, 0, v[18:19]
	v_lshrrev_b32_e32 v7, 23, v2
	s_and_b64 vcc, vcc, s[0:1]
	v_add3_u32 v7, v6, v10, v7
	v_subbrev_co_u32_e32 v6, vcc, 0, v2, vcc
	v_and_b32_e32 v6, 0xfffff, v6
	v_add_co_u32_e32 v2, vcc, v6, v2
	v_add_u32_e32 v8, -1, v7
	v_addc_co_u32_e32 v3, vcc, 0, v3, vcc
	v_cmp_ne_u32_e32 vcc, 0, v8
                                        ; implicit-def: $vgpr6
	s_and_saveexec_b64 s[0:1], vcc
	s_xor_b64 s[0:1], exec, s[0:1]
; %bb.176:                              ;   in Loop: Header=BB15_32 Depth=1
	v_and_b32_e32 v18, 0x1000000, v2
	v_cmp_eq_u64_e32 vcc, 0, v[18:19]
	v_cndmask_b32_e32 v6, v7, v8, vcc
	v_bfe_u32 v7, v2, 24, 1
	v_lshrrev_b64 v[2:3], v7, v[2:3]
; %bb.177:                              ;   in Loop: Header=BB15_32 Depth=1
	s_andn2_saveexec_b64 s[0:1], s[0:1]
; %bb.178:                              ;   in Loop: Header=BB15_32 Depth=1
	v_bfe_u32 v6, v2, 23, 1
; %bb.179:                              ;   in Loop: Header=BB15_32 Depth=1
	s_or_b64 exec, exec, s[0:1]
	v_lshrrev_b64 v[2:3], 20, v[2:3]
	v_cmp_gt_i32_e32 vcc, 16, v6
	v_and_b32_sdwa v4, v4, s26 dst_sel:DWORD dst_unused:UNUSED_PAD src0_sel:BYTE_3 src1_sel:DWORD
	v_min_i32_e32 v7, 15, v6
	v_cndmask_b32_e32 v3, 0, v3, vcc
	v_cndmask_b32_e32 v2, 7, v2, vcc
	v_cmp_eq_u32_e32 vcc, 0, v6
	v_cmp_eq_u64_e64 s[0:1], 0, v[2:3]
	v_lshl_or_b32 v3, v7, 3, v4
	v_and_or_b32 v2, v2, 7, v3
	s_and_b64 s[0:1], vcc, s[0:1]
	v_cndmask_b32_e64 v2, v2, 0, s[0:1]
.LBB15_180:                             ;   in Loop: Header=BB15_32 Depth=1
	s_or_b64 exec, exec, s[16:17]
.LBB15_181:                             ;   in Loop: Header=BB15_32 Depth=1
	s_andn2_saveexec_b64 s[0:1], s[14:15]
	s_or_b64 exec, exec, s[0:1]
.LBB15_182:                             ;   in Loop: Header=BB15_32 Depth=1
	s_andn2_saveexec_b64 s[0:1], s[12:13]
	s_or_b64 exec, exec, s[0:1]
	v_fma_mixlo_f16 v3, v1, v5, 0 op_sel:[0,1,0] op_sel_hi:[0,1,0]
	v_mul_f16_sdwa v3, v9, v3 dst_sel:DWORD dst_unused:UNUSED_PAD src0_sel:WORD_1 src1_sel:DWORD
	v_cvt_f32_f16_e32 v3, v3
	v_add_u32_e32 v4, 14, v21
	global_store_byte v4, v2, s[2:3]
	v_mul_f32_e32 v2, v24, v3
	v_min_f32_e32 v2, 0x43600000, v2
	v_max_f32_e32 v4, 0xc3600000, v2
	v_and_b32_e32 v18, 0x7f800000, v4
	v_or_b32_sdwa v2, v4, s24 dst_sel:DWORD dst_unused:UNUSED_PAD src0_sel:BYTE_3 src1_sel:DWORD
	v_cmp_ne_u64_e32 vcc, s[6:7], v[18:19]
	s_and_saveexec_b64 s[0:1], vcc
	s_xor_b64 s[12:13], exec, s[0:1]
	s_cbranch_execz .LBB15_31
; %bb.183:                              ;   in Loop: Header=BB15_32 Depth=1
	v_and_b32_e32 v18, 0x7fffffff, v4
	v_cmp_gt_u64_e32 vcc, s[10:11], v[18:19]
	s_and_saveexec_b64 s[0:1], vcc
	s_xor_b64 s[14:15], exec, s[0:1]
	s_cbranch_execz .LBB15_30
; %bb.184:                              ;   in Loop: Header=BB15_32 Depth=1
	v_cmp_ne_u32_e32 vcc, 0, v4
	v_mov_b32_e32 v2, 0
	s_and_saveexec_b64 s[16:17], vcc
	s_cbranch_execz .LBB15_29
; %bb.185:                              ;   in Loop: Header=BB15_32 Depth=1
	v_bfe_u32 v3, v4, 23, 8
	v_and_b32_e32 v2, 0x7fffff, v4
	v_sub_u32_e64 v5, s25, v3 clamp
	v_cmp_eq_u32_e32 vcc, 0, v3
	v_or_b32_e32 v6, 0x800000, v2
	v_cndmask_b32_e32 v5, v5, v25, vcc
	v_cndmask_b32_e32 v18, v6, v2, vcc
	v_add_u32_e32 v2, 20, v5
	v_add_u32_e32 v8, 0xffffff89, v3
	v_lshlrev_b64 v[2:3], v2, -1
	v_not_b32_e32 v2, v2
	v_add_u32_e32 v6, 19, v5
	v_and_b32_e32 v2, v18, v2
	v_mov_b32_e32 v3, v19
	v_lshlrev_b64 v[6:7], v6, 1
	v_cmp_eq_u64_e64 s[0:1], v[2:3], v[6:7]
	v_lshrrev_b64 v[2:3], v5, v[18:19]
	v_and_b32_e32 v18, 0x100000, v2
	v_cndmask_b32_e32 v6, v8, v26, vcc
	v_cmp_eq_u64_e32 vcc, 0, v[18:19]
	v_lshrrev_b32_e32 v7, 23, v2
	s_and_b64 vcc, vcc, s[0:1]
	v_add3_u32 v6, v6, v5, v7
	v_subbrev_co_u32_e32 v5, vcc, 0, v2, vcc
	v_and_b32_e32 v5, 0xfffff, v5
	v_add_co_u32_e32 v2, vcc, v5, v2
	v_add_u32_e32 v7, -1, v6
	v_addc_co_u32_e32 v3, vcc, 0, v3, vcc
	v_cmp_ne_u32_e32 vcc, 0, v7
                                        ; implicit-def: $vgpr5
	s_and_saveexec_b64 s[0:1], vcc
	s_xor_b64 s[0:1], exec, s[0:1]
; %bb.186:                              ;   in Loop: Header=BB15_32 Depth=1
	v_and_b32_e32 v18, 0x1000000, v2
	v_cmp_eq_u64_e32 vcc, 0, v[18:19]
	v_cndmask_b32_e32 v5, v6, v7, vcc
	v_bfe_u32 v6, v2, 24, 1
	v_lshrrev_b64 v[2:3], v6, v[2:3]
; %bb.187:                              ;   in Loop: Header=BB15_32 Depth=1
	s_andn2_saveexec_b64 s[0:1], s[0:1]
	s_cbranch_execz .LBB15_28
; %bb.188:                              ;   in Loop: Header=BB15_32 Depth=1
	v_bfe_u32 v5, v2, 23, 1
	s_branch .LBB15_28
.LBB15_189:
	s_endpgm
	.section	.rodata,"a",@progbits
	.p2align	6, 0x0
	.amdhsa_kernel _ZN4vllm32rms_norm_static_fp8_quant_kernelIN3c104HalfENS1_15Float8_e4m3fnuzELi16EEEvPT0_PKT_iS8_PKffii
		.amdhsa_group_segment_fixed_size 68
		.amdhsa_private_segment_fixed_size 0
		.amdhsa_kernarg_size 312
		.amdhsa_user_sgpr_count 6
		.amdhsa_user_sgpr_private_segment_buffer 1
		.amdhsa_user_sgpr_dispatch_ptr 0
		.amdhsa_user_sgpr_queue_ptr 0
		.amdhsa_user_sgpr_kernarg_segment_ptr 1
		.amdhsa_user_sgpr_dispatch_id 0
		.amdhsa_user_sgpr_flat_scratch_init 0
		.amdhsa_user_sgpr_kernarg_preload_length 0
		.amdhsa_user_sgpr_kernarg_preload_offset 0
		.amdhsa_user_sgpr_private_segment_size 0
		.amdhsa_uses_dynamic_stack 0
		.amdhsa_system_sgpr_private_segment_wavefront_offset 0
		.amdhsa_system_sgpr_workgroup_id_x 1
		.amdhsa_system_sgpr_workgroup_id_y 0
		.amdhsa_system_sgpr_workgroup_id_z 0
		.amdhsa_system_sgpr_workgroup_info 0
		.amdhsa_system_vgpr_workitem_id 0
		.amdhsa_next_free_vgpr 32
		.amdhsa_next_free_sgpr 27
		.amdhsa_accum_offset 32
		.amdhsa_reserve_vcc 1
		.amdhsa_reserve_flat_scratch 0
		.amdhsa_float_round_mode_32 0
		.amdhsa_float_round_mode_16_64 0
		.amdhsa_float_denorm_mode_32 3
		.amdhsa_float_denorm_mode_16_64 3
		.amdhsa_dx10_clamp 1
		.amdhsa_ieee_mode 1
		.amdhsa_fp16_overflow 0
		.amdhsa_tg_split 0
		.amdhsa_exception_fp_ieee_invalid_op 0
		.amdhsa_exception_fp_denorm_src 0
		.amdhsa_exception_fp_ieee_div_zero 0
		.amdhsa_exception_fp_ieee_overflow 0
		.amdhsa_exception_fp_ieee_underflow 0
		.amdhsa_exception_fp_ieee_inexact 0
		.amdhsa_exception_int_div_zero 0
	.end_amdhsa_kernel
	.section	.text._ZN4vllm32rms_norm_static_fp8_quant_kernelIN3c104HalfENS1_15Float8_e4m3fnuzELi16EEEvPT0_PKT_iS8_PKffii,"axG",@progbits,_ZN4vllm32rms_norm_static_fp8_quant_kernelIN3c104HalfENS1_15Float8_e4m3fnuzELi16EEEvPT0_PKT_iS8_PKffii,comdat
.Lfunc_end15:
	.size	_ZN4vllm32rms_norm_static_fp8_quant_kernelIN3c104HalfENS1_15Float8_e4m3fnuzELi16EEEvPT0_PKT_iS8_PKffii, .Lfunc_end15-_ZN4vllm32rms_norm_static_fp8_quant_kernelIN3c104HalfENS1_15Float8_e4m3fnuzELi16EEEvPT0_PKT_iS8_PKffii
                                        ; -- End function
	.section	.AMDGPU.csdata,"",@progbits
; Kernel info:
; codeLenInByte = 9036
; NumSgprs: 31
; NumVgprs: 32
; NumAgprs: 0
; TotalNumVgprs: 32
; ScratchSize: 0
; MemoryBound: 0
; FloatMode: 240
; IeeeMode: 1
; LDSByteSize: 68 bytes/workgroup (compile time only)
; SGPRBlocks: 3
; VGPRBlocks: 3
; NumSGPRsForWavesPerEU: 31
; NumVGPRsForWavesPerEU: 32
; AccumOffset: 32
; Occupancy: 8
; WaveLimiterHint : 0
; COMPUTE_PGM_RSRC2:SCRATCH_EN: 0
; COMPUTE_PGM_RSRC2:USER_SGPR: 6
; COMPUTE_PGM_RSRC2:TRAP_HANDLER: 0
; COMPUTE_PGM_RSRC2:TGID_X_EN: 1
; COMPUTE_PGM_RSRC2:TGID_Y_EN: 0
; COMPUTE_PGM_RSRC2:TGID_Z_EN: 0
; COMPUTE_PGM_RSRC2:TIDIG_COMP_CNT: 0
; COMPUTE_PGM_RSRC3_GFX90A:ACCUM_OFFSET: 7
; COMPUTE_PGM_RSRC3_GFX90A:TG_SPLIT: 0
	.section	.text._ZN4vllm32rms_norm_static_fp8_quant_kernelIN3c104HalfENS1_15Float8_e4m3fnuzELi8EEEvPT0_PKT_iS8_PKffii,"axG",@progbits,_ZN4vllm32rms_norm_static_fp8_quant_kernelIN3c104HalfENS1_15Float8_e4m3fnuzELi8EEEvPT0_PKT_iS8_PKffii,comdat
	.protected	_ZN4vllm32rms_norm_static_fp8_quant_kernelIN3c104HalfENS1_15Float8_e4m3fnuzELi8EEEvPT0_PKT_iS8_PKffii ; -- Begin function _ZN4vllm32rms_norm_static_fp8_quant_kernelIN3c104HalfENS1_15Float8_e4m3fnuzELi8EEEvPT0_PKT_iS8_PKffii
	.globl	_ZN4vllm32rms_norm_static_fp8_quant_kernelIN3c104HalfENS1_15Float8_e4m3fnuzELi8EEEvPT0_PKT_iS8_PKffii
	.p2align	8
	.type	_ZN4vllm32rms_norm_static_fp8_quant_kernelIN3c104HalfENS1_15Float8_e4m3fnuzELi8EEEvPT0_PKT_iS8_PKffii,@function
_ZN4vllm32rms_norm_static_fp8_quant_kernelIN3c104HalfENS1_15Float8_e4m3fnuzELi8EEEvPT0_PKT_iS8_PKffii: ; @_ZN4vllm32rms_norm_static_fp8_quant_kernelIN3c104HalfENS1_15Float8_e4m3fnuzELi8EEEvPT0_PKT_iS8_PKffii
; %bb.0:
	s_load_dword s2, s[4:5], 0x10
	s_load_dwordx2 s[0:1], s[4:5], 0x8
	s_load_dword s7, s[4:5], 0x30
	s_load_dword s10, s[4:5], 0x44
	s_mov_b32 s9, 0
	s_waitcnt lgkmcnt(0)
	s_mul_i32 s8, s6, s2
	s_lshl_b64 s[2:3], s[8:9], 1
	s_add_u32 s18, s0, s2
	s_addc_u32 s19, s1, s3
	s_and_b32 s20, s10, 0xffff
	s_and_b32 s8, s18, 15
	s_cmp_lg_u64 s[8:9], 0
	s_cselect_b64 s[8:9], -1, 0
	s_and_b32 s10, s7, 7
	s_cmp_lg_u32 s10, 0
	s_cselect_b64 s[10:11], -1, 0
	s_or_b64 s[8:9], s[8:9], s[10:11]
	s_and_b64 vcc, exec, s[8:9]
	s_cbranch_vccz .LBB16_14
; %bb.1:
	s_sub_i32 s8, 0, s18
	s_bfe_u32 s8, s8, 0x30001
	s_min_i32 s8, s8, s7
	v_cmp_gt_i32_e32 vcc, s8, v0
	v_mov_b32_e32 v1, 0
	s_and_saveexec_b64 s[10:11], vcc
	s_cbranch_execz .LBB16_5
; %bb.2:
	s_add_u32 s9, s0, s2
	v_lshlrev_b32_e32 v1, 1, v0
	s_addc_u32 s12, s1, s3
	s_mov_b32 s14, 0
	v_mov_b32_e32 v3, s12
	v_add_co_u32_e32 v2, vcc, s9, v1
	v_addc_co_u32_e32 v3, vcc, 0, v3, vcc
	s_lshl_b32 s9, s20, 1
	s_mov_b64 s[12:13], 0
	v_mov_b32_e32 v1, 0
	v_mov_b32_e32 v4, s14
	;; [unrolled: 1-line block ×3, first 2 shown]
.LBB16_3:                               ; =>This Inner Loop Header: Depth=1
	global_load_ushort v6, v[2:3], off
	v_add_co_u32_e32 v2, vcc, s9, v2
	v_add_u32_e32 v5, s20, v5
	v_addc_co_u32_e32 v3, vcc, v3, v4, vcc
	v_cmp_le_i32_e32 vcc, s8, v5
	s_or_b64 s[12:13], vcc, s[12:13]
	s_waitcnt vmcnt(0)
	v_fma_mix_f32 v1, v6, v6, v1 op_sel_hi:[1,1,0]
	s_andn2_b64 exec, exec, s[12:13]
	s_cbranch_execnz .LBB16_3
; %bb.4:
	s_or_b64 exec, exec, s[12:13]
.LBB16_5:
	s_or_b64 exec, exec, s[10:11]
	s_sub_i32 s14, s7, s8
	s_ashr_i32 s10, s14, 31
	s_lshr_b32 s10, s10, 29
	s_add_i32 s10, s14, s10
	s_ashr_i32 s15, s10, 3
	s_ashr_i32 s9, s8, 31
	v_cmp_gt_i32_e32 vcc, s15, v0
	s_and_saveexec_b64 s[10:11], vcc
	s_cbranch_execz .LBB16_9
; %bb.6:
	s_lshl_b64 s[12:13], s[8:9], 1
	s_add_u32 s16, s0, s2
	s_addc_u32 s21, s1, s3
	s_add_u32 s12, s16, s12
	v_lshlrev_b32_e32 v2, 4, v0
	s_addc_u32 s13, s21, s13
	s_mov_b32 s17, 0
	v_mov_b32_e32 v3, s13
	v_add_co_u32_e32 v2, vcc, s12, v2
	v_addc_co_u32_e32 v3, vcc, 0, v3, vcc
	s_lshl_b32 s16, s20, 4
	s_mov_b64 s[12:13], 0
	v_mov_b32_e32 v4, s17
	v_mov_b32_e32 v5, v0
.LBB16_7:                               ; =>This Inner Loop Header: Depth=1
	global_load_dwordx4 v[6:9], v[2:3], off
	v_add_co_u32_e32 v2, vcc, s16, v2
	v_add_u32_e32 v5, s20, v5
	v_addc_co_u32_e32 v3, vcc, v3, v4, vcc
	v_cmp_le_i32_e32 vcc, s15, v5
	s_or_b64 s[12:13], vcc, s[12:13]
	s_waitcnt vmcnt(0)
	v_fma_mix_f32 v1, v6, v6, v1 op_sel_hi:[1,1,0]
	v_fma_mix_f32 v1, v6, v6, v1 op_sel:[1,1,0] op_sel_hi:[1,1,0]
	v_fma_mix_f32 v1, v7, v7, v1 op_sel_hi:[1,1,0]
	v_fma_mix_f32 v1, v7, v7, v1 op_sel:[1,1,0] op_sel_hi:[1,1,0]
	;; [unrolled: 2-line block ×4, first 2 shown]
	s_andn2_b64 exec, exec, s[12:13]
	s_cbranch_execnz .LBB16_7
; %bb.8:
	s_or_b64 exec, exec, s[12:13]
.LBB16_9:
	s_or_b64 exec, exec, s[10:11]
	v_lshl_add_u32 v2, s15, 3, v0
	v_cmp_gt_i32_e32 vcc, s14, v2
	s_and_saveexec_b64 s[10:11], vcc
	s_cbranch_execz .LBB16_13
; %bb.10:
	s_lshl_b64 s[8:9], s[8:9], 1
	s_add_u32 s12, s0, s2
	s_addc_u32 s13, s1, s3
	v_ashrrev_i32_e32 v3, 31, v2
	s_add_u32 s8, s12, s8
	v_lshlrev_b64 v[4:5], 1, v[2:3]
	s_addc_u32 s9, s13, s9
	v_mov_b32_e32 v3, s9
	v_add_co_u32_e32 v4, vcc, s8, v4
	s_mov_b32 s13, 0
	v_addc_co_u32_e32 v5, vcc, v3, v5, vcc
	s_lshl_b32 s12, s20, 1
	s_mov_b64 s[8:9], 0
	v_mov_b32_e32 v3, s13
.LBB16_11:                              ; =>This Inner Loop Header: Depth=1
	global_load_ushort v6, v[4:5], off
	v_add_co_u32_e32 v4, vcc, s12, v4
	v_add_u32_e32 v2, s20, v2
	v_addc_co_u32_e32 v5, vcc, v5, v3, vcc
	v_cmp_le_i32_e32 vcc, s14, v2
	s_or_b64 s[8:9], vcc, s[8:9]
	s_waitcnt vmcnt(0)
	v_fma_mix_f32 v1, v6, v6, v1 op_sel_hi:[1,1,0]
	s_andn2_b64 exec, exec, s[8:9]
	s_cbranch_execnz .LBB16_11
; %bb.12:
	s_or_b64 exec, exec, s[8:9]
.LBB16_13:
	s_or_b64 exec, exec, s[10:11]
	s_branch .LBB16_20
.LBB16_14:
                                        ; implicit-def: $vgpr1
	s_cbranch_execz .LBB16_20
; %bb.15:
	s_ashr_i32 s10, s7, 3
	v_cmp_gt_i32_e32 vcc, s10, v0
	v_mov_b32_e32 v1, 0
	s_and_saveexec_b64 s[8:9], vcc
	s_cbranch_execz .LBB16_19
; %bb.16:
	s_add_u32 s0, s0, s2
	v_lshlrev_b32_e32 v1, 4, v0
	s_addc_u32 s1, s1, s3
	s_mov_b32 s11, 0
	v_mov_b32_e32 v3, s1
	v_add_co_u32_e32 v2, vcc, s0, v1
	v_addc_co_u32_e32 v3, vcc, 0, v3, vcc
	s_lshl_b32 s2, s20, 4
	s_mov_b64 s[0:1], 0
	v_mov_b32_e32 v1, 0
	v_mov_b32_e32 v4, s11
	v_mov_b32_e32 v5, v0
.LBB16_17:                              ; =>This Inner Loop Header: Depth=1
	global_load_dwordx4 v[6:9], v[2:3], off
	v_add_co_u32_e32 v2, vcc, s2, v2
	v_add_u32_e32 v5, s20, v5
	v_addc_co_u32_e32 v3, vcc, v3, v4, vcc
	v_cmp_le_i32_e32 vcc, s10, v5
	s_or_b64 s[0:1], vcc, s[0:1]
	s_waitcnt vmcnt(0)
	v_fma_mix_f32 v1, v6, v6, v1 op_sel_hi:[1,1,0]
	v_fma_mix_f32 v1, v6, v6, v1 op_sel:[1,1,0] op_sel_hi:[1,1,0]
	v_fma_mix_f32 v1, v7, v7, v1 op_sel_hi:[1,1,0]
	v_fma_mix_f32 v1, v7, v7, v1 op_sel:[1,1,0] op_sel_hi:[1,1,0]
	;; [unrolled: 2-line block ×4, first 2 shown]
	s_andn2_b64 exec, exec, s[0:1]
	s_cbranch_execnz .LBB16_17
; %bb.18:
	s_or_b64 exec, exec, s[0:1]
.LBB16_19:
	s_or_b64 exec, exec, s[8:9]
.LBB16_20:
	v_mbcnt_lo_u32_b32 v2, -1, 0
	v_mbcnt_hi_u32_b32 v2, -1, v2
	v_and_b32_e32 v3, 63, v2
	v_cmp_ne_u32_e32 vcc, 63, v3
	v_addc_co_u32_e32 v4, vcc, 0, v2, vcc
	v_lshlrev_b32_e32 v4, 2, v4
	ds_bpermute_b32 v4, v4, v1
	v_and_b32_e32 v5, 0x3c0, v0
	v_sub_u32_e64 v5, s20, v5 clamp
	v_add_u32_e32 v6, 1, v2
	v_cmp_lt_u32_e32 vcc, v6, v5
	s_waitcnt lgkmcnt(0)
	v_add_f32_e32 v4, v1, v4
	v_cndmask_b32_e32 v1, v1, v4, vcc
	v_cmp_gt_u32_e32 vcc, 62, v3
	v_cndmask_b32_e64 v4, 0, 1, vcc
	v_lshlrev_b32_e32 v4, 1, v4
	v_add_lshl_u32 v4, v4, v2, 2
	ds_bpermute_b32 v4, v4, v1
	v_add_u32_e32 v6, 2, v2
	v_cmp_lt_u32_e32 vcc, v6, v5
	v_add_u32_e32 v6, 4, v2
	s_waitcnt lgkmcnt(0)
	v_add_f32_e32 v4, v1, v4
	v_cndmask_b32_e32 v1, v1, v4, vcc
	v_cmp_gt_u32_e32 vcc, 60, v3
	v_cndmask_b32_e64 v4, 0, 1, vcc
	v_lshlrev_b32_e32 v4, 2, v4
	v_add_lshl_u32 v4, v4, v2, 2
	ds_bpermute_b32 v4, v4, v1
	v_cmp_lt_u32_e32 vcc, v6, v5
	v_add_u32_e32 v6, 8, v2
	s_waitcnt lgkmcnt(0)
	v_add_f32_e32 v4, v1, v4
	v_cndmask_b32_e32 v1, v1, v4, vcc
	v_cmp_gt_u32_e32 vcc, 56, v3
	v_cndmask_b32_e64 v4, 0, 1, vcc
	v_lshlrev_b32_e32 v4, 3, v4
	v_add_lshl_u32 v4, v4, v2, 2
	ds_bpermute_b32 v4, v4, v1
	;; [unrolled: 10-line block ×3, first 2 shown]
	v_cmp_lt_u32_e32 vcc, v6, v5
	s_waitcnt lgkmcnt(0)
	v_add_f32_e32 v4, v1, v4
	v_cndmask_b32_e32 v1, v1, v4, vcc
	v_cmp_gt_u32_e32 vcc, 32, v3
	v_cndmask_b32_e64 v3, 0, 1, vcc
	v_lshlrev_b32_e32 v3, 5, v3
	v_add_lshl_u32 v3, v3, v2, 2
	ds_bpermute_b32 v3, v3, v1
	v_add_u32_e32 v4, 32, v2
	v_cmp_lt_u32_e32 vcc, v4, v5
	s_waitcnt lgkmcnt(0)
	v_add_f32_e32 v3, v1, v3
	v_cndmask_b32_e32 v1, v1, v3, vcc
	v_cmp_eq_u32_e32 vcc, 0, v2
	s_and_saveexec_b64 s[0:1], vcc
	s_cbranch_execz .LBB16_22
; %bb.21:
	v_lshrrev_b32_e32 v3, 4, v0
	v_and_b32_e32 v3, 60, v3
	ds_write_b32 v3, v1
.LBB16_22:
	s_or_b64 exec, exec, s[0:1]
	v_cmp_gt_u32_e32 vcc, 16, v0
	s_waitcnt lgkmcnt(0)
	s_barrier
	s_and_saveexec_b64 s[2:3], vcc
	s_cbranch_execz .LBB16_24
; %bb.23:
	v_lshlrev_b32_e32 v1, 2, v2
	ds_read_b32 v1, v1
	v_and_b32_e32 v3, 15, v2
	v_cmp_ne_u32_e32 vcc, 15, v3
	v_addc_co_u32_e32 v4, vcc, 0, v2, vcc
	v_lshlrev_b32_e32 v4, 2, v4
	s_waitcnt lgkmcnt(0)
	ds_bpermute_b32 v4, v4, v1
	s_add_i32 s0, s20, 63
	s_lshr_b32 s8, s0, 6
	v_add_u32_e32 v5, 1, v3
	v_cmp_gt_u32_e64 s[0:1], 14, v3
	v_cmp_gt_u32_e32 vcc, s8, v5
	v_cndmask_b32_e64 v5, 0, 1, s[0:1]
	s_waitcnt lgkmcnt(0)
	v_add_f32_e32 v4, v1, v4
	v_lshlrev_b32_e32 v5, 1, v5
	v_cndmask_b32_e32 v4, v1, v4, vcc
	v_add_lshl_u32 v5, v5, v2, 2
	ds_bpermute_b32 v5, v5, v4
	v_add_u32_e32 v6, 2, v3
	v_cmp_gt_u32_e64 s[0:1], s8, v6
	v_add_u32_e32 v6, 4, v3
	s_waitcnt lgkmcnt(0)
	v_add_f32_e32 v5, v4, v5
	v_cndmask_b32_e64 v4, v4, v5, s[0:1]
	v_cmp_gt_u32_e64 s[0:1], 12, v3
	v_cndmask_b32_e64 v5, 0, 1, s[0:1]
	v_lshlrev_b32_e32 v5, 2, v5
	v_add_lshl_u32 v5, v5, v2, 2
	ds_bpermute_b32 v5, v5, v4
	v_cmp_gt_u32_e64 s[0:1], s8, v6
	s_waitcnt lgkmcnt(0)
	v_add_f32_e32 v5, v4, v5
	v_cndmask_b32_e64 v4, v4, v5, s[0:1]
	v_cmp_gt_u32_e64 s[0:1], 8, v3
	v_cndmask_b32_e64 v5, 0, 1, s[0:1]
	v_lshlrev_b32_e32 v5, 3, v5
	v_add_lshl_u32 v2, v5, v2, 2
	ds_bpermute_b32 v2, v2, v4
	v_add_u32_e32 v3, 8, v3
	v_cmp_gt_u32_e64 s[0:1], s8, v3
	s_waitcnt lgkmcnt(0)
	v_add_f32_e32 v2, v4, v2
	v_cndmask_b32_e64 v2, v4, v2, s[0:1]
	v_cndmask_b32_e32 v1, v1, v2, vcc
.LBB16_24:
	s_or_b64 exec, exec, s[2:3]
	v_cmp_eq_u32_e32 vcc, 0, v0
	s_and_saveexec_b64 s[0:1], vcc
	s_cbranch_execz .LBB16_26
; %bb.25:
	v_cvt_f32_i32_e32 v2, s7
	s_load_dword s8, s[4:5], 0x28
	v_div_scale_f32 v3, s[2:3], v2, v2, v1
	v_rcp_f32_e32 v4, v3
	v_div_scale_f32 v5, vcc, v1, v2, v1
	s_mov_b32 s2, 0x800000
	v_fma_f32 v6, -v3, v4, 1.0
	v_fmac_f32_e32 v4, v6, v4
	v_mul_f32_e32 v6, v5, v4
	v_fma_f32 v7, -v3, v6, v5
	v_fmac_f32_e32 v6, v7, v4
	v_fma_f32 v3, -v3, v6, v5
	v_div_fmas_f32 v3, v3, v4, v6
	v_div_fixup_f32 v1, v3, v2, v1
	s_waitcnt lgkmcnt(0)
	v_add_f32_e32 v1, s8, v1
	v_mul_f32_e32 v2, 0x4b800000, v1
	v_cmp_gt_f32_e32 vcc, s2, v1
	v_cndmask_b32_e32 v1, v1, v2, vcc
	v_rsq_f32_e32 v1, v1
	v_mul_f32_e32 v2, 0x45800000, v1
	v_cndmask_b32_e32 v1, v1, v2, vcc
	v_mov_b32_e32 v2, 0
	ds_write_b32 v2, v1 offset:64
.LBB16_26:
	s_or_b64 exec, exec, s[0:1]
	s_ashr_i32 s0, s7, 31
	s_lshr_b32 s0, s0, 29
	s_add_i32 s0, s7, s0
	s_ashr_i32 s21, s0, 3
	v_cmp_gt_i32_e32 vcc, s21, v0
	s_waitcnt lgkmcnt(0)
	s_barrier
	s_and_saveexec_b64 s[0:1], vcc
	s_cbranch_execz .LBB16_109
; %bb.27:
	s_load_dwordx4 s[8:11], s[4:5], 0x18
	s_load_dwordx2 s[2:3], s[4:5], 0x0
	v_mov_b32_e32 v11, 0
	ds_read_b32 v1, v11 offset:64
	s_mul_i32 s6, s6, s7
	s_waitcnt lgkmcnt(0)
	s_load_dword s4, s[10:11], 0x0
	s_lshl_b32 s22, s20, 3
	v_lshlrev_b32_e32 v12, 4, v0
	v_lshl_add_u32 v13, v0, 3, s6
	s_lshl_b32 s23, s20, 4
	s_waitcnt lgkmcnt(0)
	v_div_scale_f32 v2, s[0:1], s4, s4, 1.0
	v_rcp_f32_e32 v3, v2
	v_div_scale_f32 v4, vcc, 1.0, s4, 1.0
	s_movk_i32 s24, 0x7f
	v_fma_f32 v5, -v2, v3, 1.0
	v_fmac_f32_e32 v3, v5, v3
	v_mul_f32_e32 v5, v4, v3
	v_fma_f32 v6, -v2, v5, v4
	v_fmac_f32_e32 v5, v6, v3
	v_fma_f32 v2, -v2, v5, v4
	v_div_fmas_f32 v2, v2, v3, v5
	v_div_fixup_f32 v16, v2, s4, 1.0
	s_mov_b64 s[4:5], 0
	s_mov_b64 s[6:7], 0x7f800000
	;; [unrolled: 1-line block ×3, first 2 shown]
	s_movk_i32 s25, 0x78
	s_movk_i32 s26, 0x80
	v_mov_b32_e32 v17, 0x77
	v_mov_b32_e32 v18, 0xffffff8a
	s_branch .LBB16_32
.LBB16_28:                              ;   in Loop: Header=BB16_32 Depth=1
	s_or_b64 exec, exec, s[0:1]
	v_lshrrev_b64 v[2:3], 20, v[2:3]
	v_cmp_gt_i32_e32 vcc, 16, v5
	v_and_b32_sdwa v4, v4, s26 dst_sel:DWORD dst_unused:UNUSED_PAD src0_sel:BYTE_3 src1_sel:DWORD
	v_min_i32_e32 v6, 15, v5
	v_cndmask_b32_e32 v3, 0, v3, vcc
	v_cndmask_b32_e32 v2, 7, v2, vcc
	v_cmp_eq_u32_e32 vcc, 0, v5
	v_cmp_eq_u64_e64 s[0:1], 0, v[2:3]
	v_lshl_or_b32 v3, v6, 3, v4
	v_and_or_b32 v2, v2, 7, v3
	s_and_b64 s[0:1], vcc, s[0:1]
	v_cndmask_b32_e64 v2, v2, 0, s[0:1]
.LBB16_29:                              ;   in Loop: Header=BB16_32 Depth=1
	s_or_b64 exec, exec, s[16:17]
.LBB16_30:                              ;   in Loop: Header=BB16_32 Depth=1
	s_andn2_saveexec_b64 s[0:1], s[14:15]
	s_or_b64 exec, exec, s[0:1]
.LBB16_31:                              ;   in Loop: Header=BB16_32 Depth=1
	s_andn2_saveexec_b64 s[0:1], s[12:13]
	s_or_b64 exec, exec, s[0:1]
	s_add_u32 s8, s8, s23
	s_addc_u32 s9, s9, 0
	v_add_u32_e32 v0, s20, v0
	s_add_u32 s18, s18, s23
	s_addc_u32 s19, s19, 0
	v_cmp_le_i32_e32 vcc, s21, v0
	v_add_u32_e32 v3, 7, v13
	s_or_b64 s[4:5], vcc, s[4:5]
	v_add_u32_e32 v13, s22, v13
	global_store_byte v3, v2, s[2:3]
	s_andn2_b64 exec, exec, s[4:5]
	s_cbranch_execz .LBB16_109
.LBB16_32:                              ; =>This Inner Loop Header: Depth=1
	v_mov_b32_e32 v3, s19
	v_add_co_u32_e32 v2, vcc, s18, v12
	v_addc_co_u32_e32 v3, vcc, 0, v3, vcc
	v_mov_b32_e32 v7, s9
	v_add_co_u32_e32 v6, vcc, s8, v12
	global_load_dwordx4 v[2:5], v[2:3], off
	v_addc_co_u32_e32 v7, vcc, 0, v7, vcc
	global_load_dwordx4 v[6:9], v[6:7], off
	s_waitcnt vmcnt(1)
	v_fma_mixlo_f16 v10, v1, v2, 0 op_sel_hi:[0,1,0]
	s_waitcnt vmcnt(0)
	v_mul_f16_e32 v10, v6, v10
	v_cvt_f32_f16_e32 v10, v10
	v_mul_f32_e32 v10, v16, v10
	v_min_f32_e32 v10, 0x43600000, v10
	v_max_f32_e32 v19, 0xc3600000, v10
	v_and_b32_e32 v10, 0x7f800000, v19
	v_or_b32_sdwa v14, v19, s24 dst_sel:DWORD dst_unused:UNUSED_PAD src0_sel:BYTE_3 src1_sel:DWORD
	v_cmp_ne_u64_e32 vcc, s[6:7], v[10:11]
	s_and_saveexec_b64 s[0:1], vcc
	s_xor_b64 s[12:13], exec, s[0:1]
	s_cbranch_execz .LBB16_42
; %bb.33:                               ;   in Loop: Header=BB16_32 Depth=1
	v_and_b32_e32 v10, 0x7fffffff, v19
	v_cmp_gt_u64_e32 vcc, s[10:11], v[10:11]
	s_and_saveexec_b64 s[0:1], vcc
	s_xor_b64 s[14:15], exec, s[0:1]
	s_cbranch_execz .LBB16_41
; %bb.34:                               ;   in Loop: Header=BB16_32 Depth=1
	v_cmp_ne_u32_e32 vcc, 0, v19
	v_mov_b32_e32 v14, 0
	s_and_saveexec_b64 s[16:17], vcc
	s_cbranch_execz .LBB16_40
; %bb.35:                               ;   in Loop: Header=BB16_32 Depth=1
	v_bfe_u32 v14, v19, 23, 8
	v_sub_u32_e64 v15, s25, v14 clamp
	v_cmp_eq_u32_e32 vcc, 0, v14
	v_cndmask_b32_e32 v23, v15, v17, vcc
	v_and_b32_e32 v10, 0x7fffff, v19
	v_add_u32_e32 v22, 0xffffff89, v14
	v_add_u32_e32 v14, 20, v23
	v_or_b32_e32 v20, 0x800000, v10
	v_lshlrev_b64 v[14:15], v14, -1
	v_cndmask_b32_e32 v10, v20, v10, vcc
	v_not_b32_e32 v14, v14
	v_add_u32_e32 v20, 19, v23
	v_and_b32_e32 v14, v10, v14
	v_mov_b32_e32 v15, v11
	v_lshlrev_b64 v[20:21], v20, 1
	v_cmp_eq_u64_e64 s[0:1], v[14:15], v[20:21]
	s_waitcnt vmcnt(0) expcnt(0) lgkmcnt(0)
	v_swap_b32 v0, v23
	v_lshrrev_b64 v[14:15], v0, v[10:11]
	v_swap_b32 v23, v0
	v_cndmask_b32_e32 v10, v22, v18, vcc
	v_lshrrev_b32_e32 v20, 23, v14
	v_add3_u32 v20, v10, v23, v20
	v_and_b32_e32 v10, 0x100000, v14
	v_cmp_eq_u64_e32 vcc, 0, v[10:11]
	s_and_b64 vcc, vcc, s[0:1]
	v_subbrev_co_u32_e32 v10, vcc, 0, v14, vcc
	v_and_b32_e32 v10, 0xfffff, v10
	v_add_co_u32_e32 v14, vcc, v10, v14
	v_add_u32_e32 v21, -1, v20
	v_addc_co_u32_e32 v15, vcc, 0, v15, vcc
	v_cmp_ne_u32_e32 vcc, 0, v21
                                        ; implicit-def: $vgpr10
	s_and_saveexec_b64 s[0:1], vcc
	s_xor_b64 s[0:1], exec, s[0:1]
; %bb.36:                               ;   in Loop: Header=BB16_32 Depth=1
	v_and_b32_e32 v10, 0x1000000, v14
	v_cmp_eq_u64_e32 vcc, 0, v[10:11]
	v_cndmask_b32_e32 v10, v20, v21, vcc
	v_bfe_u32 v20, v14, 24, 1
	v_lshrrev_b64 v[14:15], v20, v[14:15]
; %bb.37:                               ;   in Loop: Header=BB16_32 Depth=1
	s_andn2_saveexec_b64 s[0:1], s[0:1]
; %bb.38:                               ;   in Loop: Header=BB16_32 Depth=1
	v_bfe_u32 v10, v14, 23, 1
; %bb.39:                               ;   in Loop: Header=BB16_32 Depth=1
	s_or_b64 exec, exec, s[0:1]
	v_lshrrev_b64 v[14:15], 20, v[14:15]
	v_cmp_gt_i32_e32 vcc, 16, v10
	v_and_b32_sdwa v19, v19, s26 dst_sel:DWORD dst_unused:UNUSED_PAD src0_sel:BYTE_3 src1_sel:DWORD
	v_min_i32_e32 v20, 15, v10
	v_cndmask_b32_e32 v15, 0, v15, vcc
	v_cndmask_b32_e32 v14, 7, v14, vcc
	v_cmp_eq_u32_e32 vcc, 0, v10
	v_cmp_eq_u64_e64 s[0:1], 0, v[14:15]
	v_lshl_or_b32 v10, v20, 3, v19
	v_and_or_b32 v10, v14, 7, v10
	s_and_b64 s[0:1], vcc, s[0:1]
	v_cndmask_b32_e64 v14, v10, 0, s[0:1]
.LBB16_40:                              ;   in Loop: Header=BB16_32 Depth=1
	s_or_b64 exec, exec, s[16:17]
.LBB16_41:                              ;   in Loop: Header=BB16_32 Depth=1
	s_andn2_saveexec_b64 s[0:1], s[14:15]
	s_or_b64 exec, exec, s[0:1]
.LBB16_42:                              ;   in Loop: Header=BB16_32 Depth=1
	s_andn2_saveexec_b64 s[0:1], s[12:13]
	s_or_b64 exec, exec, s[0:1]
	v_fma_mixlo_f16 v2, v1, v2, 0 op_sel:[0,1,0] op_sel_hi:[0,1,0]
	v_mul_f16_sdwa v2, v6, v2 dst_sel:DWORD dst_unused:UNUSED_PAD src0_sel:WORD_1 src1_sel:DWORD
	v_cvt_f32_f16_e32 v2, v2
	global_store_byte v13, v14, s[2:3]
	v_mul_f32_e32 v2, v16, v2
	v_min_f32_e32 v2, 0x43600000, v2
	v_max_f32_e32 v2, 0xc3600000, v2
	v_and_b32_e32 v10, 0x7f800000, v2
	v_or_b32_sdwa v6, v2, s24 dst_sel:DWORD dst_unused:UNUSED_PAD src0_sel:BYTE_3 src1_sel:DWORD
	v_cmp_ne_u64_e32 vcc, s[6:7], v[10:11]
	s_and_saveexec_b64 s[0:1], vcc
	s_xor_b64 s[12:13], exec, s[0:1]
	s_cbranch_execz .LBB16_52
; %bb.43:                               ;   in Loop: Header=BB16_32 Depth=1
	v_and_b32_e32 v10, 0x7fffffff, v2
	v_cmp_gt_u64_e32 vcc, s[10:11], v[10:11]
	s_and_saveexec_b64 s[0:1], vcc
	s_xor_b64 s[14:15], exec, s[0:1]
	s_cbranch_execz .LBB16_51
; %bb.44:                               ;   in Loop: Header=BB16_32 Depth=1
	v_cmp_ne_u32_e32 vcc, 0, v2
	v_mov_b32_e32 v6, 0
	s_and_saveexec_b64 s[16:17], vcc
	s_cbranch_execz .LBB16_50
; %bb.45:                               ;   in Loop: Header=BB16_32 Depth=1
	v_bfe_u32 v10, v2, 23, 8
	v_and_b32_e32 v6, 0x7fffff, v2
	v_sub_u32_e64 v14, s25, v10 clamp
	v_cmp_eq_u32_e32 vcc, 0, v10
	v_or_b32_e32 v15, 0x800000, v6
	v_cndmask_b32_e32 v22, v14, v17, vcc
	v_add_u32_e32 v19, 0xffffff89, v10
	v_cndmask_b32_e32 v10, v15, v6, vcc
	v_add_u32_e32 v6, 20, v22
	v_lshlrev_b64 v[14:15], v6, -1
	v_not_b32_e32 v6, v14
	v_and_b32_e32 v14, v10, v6
	v_add_u32_e32 v6, 19, v22
	v_mov_b32_e32 v15, v11
	v_lshlrev_b64 v[20:21], v6, 1
	v_cmp_eq_u64_e64 s[0:1], v[14:15], v[20:21]
	v_lshrrev_b64 v[14:15], v22, v[10:11]
	v_cndmask_b32_e32 v6, v19, v18, vcc
	v_lshrrev_b32_e32 v10, 23, v14
	v_add3_u32 v19, v6, v22, v10
	v_and_b32_e32 v10, 0x100000, v14
	v_cmp_eq_u64_e32 vcc, 0, v[10:11]
	s_and_b64 vcc, vcc, s[0:1]
	v_subbrev_co_u32_e32 v6, vcc, 0, v14, vcc
	v_and_b32_e32 v6, 0xfffff, v6
	v_add_co_u32_e32 v14, vcc, v6, v14
	v_add_u32_e32 v20, -1, v19
	v_addc_co_u32_e32 v15, vcc, 0, v15, vcc
	v_cmp_ne_u32_e32 vcc, 0, v20
                                        ; implicit-def: $vgpr6
	s_and_saveexec_b64 s[0:1], vcc
	s_xor_b64 s[0:1], exec, s[0:1]
; %bb.46:                               ;   in Loop: Header=BB16_32 Depth=1
	v_and_b32_e32 v10, 0x1000000, v14
	v_cmp_eq_u64_e32 vcc, 0, v[10:11]
	v_bfe_u32 v10, v14, 24, 1
	v_cndmask_b32_e32 v6, v19, v20, vcc
	v_lshrrev_b64 v[14:15], v10, v[14:15]
; %bb.47:                               ;   in Loop: Header=BB16_32 Depth=1
	s_andn2_saveexec_b64 s[0:1], s[0:1]
; %bb.48:                               ;   in Loop: Header=BB16_32 Depth=1
	v_bfe_u32 v6, v14, 23, 1
; %bb.49:                               ;   in Loop: Header=BB16_32 Depth=1
	s_or_b64 exec, exec, s[0:1]
	v_lshrrev_b64 v[14:15], 20, v[14:15]
	v_cmp_gt_i32_e32 vcc, 16, v6
	v_and_b32_sdwa v2, v2, s26 dst_sel:DWORD dst_unused:UNUSED_PAD src0_sel:BYTE_3 src1_sel:DWORD
	v_min_i32_e32 v10, 15, v6
	v_cndmask_b32_e32 v15, 0, v15, vcc
	v_cndmask_b32_e32 v14, 7, v14, vcc
	v_cmp_eq_u32_e32 vcc, 0, v6
	v_cmp_eq_u64_e64 s[0:1], 0, v[14:15]
	v_lshl_or_b32 v2, v10, 3, v2
	v_and_or_b32 v2, v14, 7, v2
	s_and_b64 s[0:1], vcc, s[0:1]
	v_cndmask_b32_e64 v6, v2, 0, s[0:1]
.LBB16_50:                              ;   in Loop: Header=BB16_32 Depth=1
	s_or_b64 exec, exec, s[16:17]
.LBB16_51:                              ;   in Loop: Header=BB16_32 Depth=1
	s_andn2_saveexec_b64 s[0:1], s[14:15]
	s_or_b64 exec, exec, s[0:1]
.LBB16_52:                              ;   in Loop: Header=BB16_32 Depth=1
	s_andn2_saveexec_b64 s[0:1], s[12:13]
	s_or_b64 exec, exec, s[0:1]
	v_fma_mixlo_f16 v2, v1, v3, 0 op_sel_hi:[0,1,0]
	v_mul_f16_e32 v2, v7, v2
	v_cvt_f32_f16_e32 v2, v2
	v_add_u32_e32 v10, 1, v13
	global_store_byte v10, v6, s[2:3]
	v_mul_f32_e32 v2, v16, v2
	v_min_f32_e32 v2, 0x43600000, v2
	v_max_f32_e32 v2, 0xc3600000, v2
	v_and_b32_e32 v10, 0x7f800000, v2
	v_or_b32_sdwa v6, v2, s24 dst_sel:DWORD dst_unused:UNUSED_PAD src0_sel:BYTE_3 src1_sel:DWORD
	v_cmp_ne_u64_e32 vcc, s[6:7], v[10:11]
	s_and_saveexec_b64 s[0:1], vcc
	s_xor_b64 s[12:13], exec, s[0:1]
	s_cbranch_execz .LBB16_62
; %bb.53:                               ;   in Loop: Header=BB16_32 Depth=1
	v_and_b32_e32 v10, 0x7fffffff, v2
	v_cmp_gt_u64_e32 vcc, s[10:11], v[10:11]
	s_and_saveexec_b64 s[0:1], vcc
	s_xor_b64 s[14:15], exec, s[0:1]
	s_cbranch_execz .LBB16_61
; %bb.54:                               ;   in Loop: Header=BB16_32 Depth=1
	v_cmp_ne_u32_e32 vcc, 0, v2
	v_mov_b32_e32 v6, 0
	s_and_saveexec_b64 s[16:17], vcc
	s_cbranch_execz .LBB16_60
; %bb.55:                               ;   in Loop: Header=BB16_32 Depth=1
	v_bfe_u32 v10, v2, 23, 8
	v_and_b32_e32 v6, 0x7fffff, v2
	v_sub_u32_e64 v14, s25, v10 clamp
	v_cmp_eq_u32_e32 vcc, 0, v10
	v_or_b32_e32 v15, 0x800000, v6
	v_cndmask_b32_e32 v22, v14, v17, vcc
	v_add_u32_e32 v19, 0xffffff89, v10
	v_cndmask_b32_e32 v10, v15, v6, vcc
	v_add_u32_e32 v6, 20, v22
	v_lshlrev_b64 v[14:15], v6, -1
	v_not_b32_e32 v6, v14
	v_and_b32_e32 v14, v10, v6
	v_add_u32_e32 v6, 19, v22
	v_mov_b32_e32 v15, v11
	v_lshlrev_b64 v[20:21], v6, 1
	v_cmp_eq_u64_e64 s[0:1], v[14:15], v[20:21]
	v_lshrrev_b64 v[14:15], v22, v[10:11]
	v_cndmask_b32_e32 v6, v19, v18, vcc
	v_lshrrev_b32_e32 v10, 23, v14
	v_add3_u32 v19, v6, v22, v10
	v_and_b32_e32 v10, 0x100000, v14
	v_cmp_eq_u64_e32 vcc, 0, v[10:11]
	s_and_b64 vcc, vcc, s[0:1]
	v_subbrev_co_u32_e32 v6, vcc, 0, v14, vcc
	v_and_b32_e32 v6, 0xfffff, v6
	v_add_co_u32_e32 v14, vcc, v6, v14
	v_add_u32_e32 v20, -1, v19
	v_addc_co_u32_e32 v15, vcc, 0, v15, vcc
	v_cmp_ne_u32_e32 vcc, 0, v20
                                        ; implicit-def: $vgpr6
	s_and_saveexec_b64 s[0:1], vcc
	s_xor_b64 s[0:1], exec, s[0:1]
; %bb.56:                               ;   in Loop: Header=BB16_32 Depth=1
	v_and_b32_e32 v10, 0x1000000, v14
	v_cmp_eq_u64_e32 vcc, 0, v[10:11]
	v_bfe_u32 v10, v14, 24, 1
	v_cndmask_b32_e32 v6, v19, v20, vcc
	v_lshrrev_b64 v[14:15], v10, v[14:15]
; %bb.57:                               ;   in Loop: Header=BB16_32 Depth=1
	s_andn2_saveexec_b64 s[0:1], s[0:1]
; %bb.58:                               ;   in Loop: Header=BB16_32 Depth=1
	v_bfe_u32 v6, v14, 23, 1
; %bb.59:                               ;   in Loop: Header=BB16_32 Depth=1
	s_or_b64 exec, exec, s[0:1]
	v_lshrrev_b64 v[14:15], 20, v[14:15]
	v_cmp_gt_i32_e32 vcc, 16, v6
	v_and_b32_sdwa v2, v2, s26 dst_sel:DWORD dst_unused:UNUSED_PAD src0_sel:BYTE_3 src1_sel:DWORD
	v_min_i32_e32 v10, 15, v6
	v_cndmask_b32_e32 v15, 0, v15, vcc
	v_cndmask_b32_e32 v14, 7, v14, vcc
	v_cmp_eq_u32_e32 vcc, 0, v6
	v_cmp_eq_u64_e64 s[0:1], 0, v[14:15]
	v_lshl_or_b32 v2, v10, 3, v2
	v_and_or_b32 v2, v14, 7, v2
	s_and_b64 s[0:1], vcc, s[0:1]
	v_cndmask_b32_e64 v6, v2, 0, s[0:1]
.LBB16_60:                              ;   in Loop: Header=BB16_32 Depth=1
	s_or_b64 exec, exec, s[16:17]
.LBB16_61:                              ;   in Loop: Header=BB16_32 Depth=1
	s_andn2_saveexec_b64 s[0:1], s[14:15]
	s_or_b64 exec, exec, s[0:1]
.LBB16_62:                              ;   in Loop: Header=BB16_32 Depth=1
	s_andn2_saveexec_b64 s[0:1], s[12:13]
	s_or_b64 exec, exec, s[0:1]
	v_fma_mixlo_f16 v2, v1, v3, 0 op_sel:[0,1,0] op_sel_hi:[0,1,0]
	v_mul_f16_sdwa v2, v7, v2 dst_sel:DWORD dst_unused:UNUSED_PAD src0_sel:WORD_1 src1_sel:DWORD
	v_cvt_f32_f16_e32 v2, v2
	v_add_u32_e32 v3, 2, v13
	global_store_byte v3, v6, s[2:3]
	v_mul_f32_e32 v2, v16, v2
	v_min_f32_e32 v2, 0x43600000, v2
	v_max_f32_e32 v6, 0xc3600000, v2
	v_and_b32_e32 v10, 0x7f800000, v6
	v_or_b32_sdwa v2, v6, s24 dst_sel:DWORD dst_unused:UNUSED_PAD src0_sel:BYTE_3 src1_sel:DWORD
	v_cmp_ne_u64_e32 vcc, s[6:7], v[10:11]
	s_and_saveexec_b64 s[0:1], vcc
	s_xor_b64 s[12:13], exec, s[0:1]
	s_cbranch_execz .LBB16_72
; %bb.63:                               ;   in Loop: Header=BB16_32 Depth=1
	v_and_b32_e32 v10, 0x7fffffff, v6
	v_cmp_gt_u64_e32 vcc, s[10:11], v[10:11]
	s_and_saveexec_b64 s[0:1], vcc
	s_xor_b64 s[14:15], exec, s[0:1]
	s_cbranch_execz .LBB16_71
; %bb.64:                               ;   in Loop: Header=BB16_32 Depth=1
	v_cmp_ne_u32_e32 vcc, 0, v6
	v_mov_b32_e32 v2, 0
	s_and_saveexec_b64 s[16:17], vcc
	s_cbranch_execz .LBB16_70
; %bb.65:                               ;   in Loop: Header=BB16_32 Depth=1
	v_bfe_u32 v3, v6, 23, 8
	v_and_b32_e32 v2, 0x7fffff, v6
	v_sub_u32_e64 v7, s25, v3 clamp
	v_cmp_eq_u32_e32 vcc, 0, v3
	v_or_b32_e32 v10, 0x800000, v2
	v_cndmask_b32_e32 v7, v7, v17, vcc
	v_cndmask_b32_e32 v10, v10, v2, vcc
	v_add_u32_e32 v2, 20, v7
	v_add_u32_e32 v19, 0xffffff89, v3
	v_lshlrev_b64 v[2:3], v2, -1
	v_not_b32_e32 v2, v2
	v_add_u32_e32 v14, 19, v7
	v_and_b32_e32 v2, v10, v2
	v_mov_b32_e32 v3, v11
	v_lshlrev_b64 v[14:15], v14, 1
	v_cmp_eq_u64_e64 s[0:1], v[2:3], v[14:15]
	v_lshrrev_b64 v[2:3], v7, v[10:11]
	v_cndmask_b32_e32 v10, v19, v18, vcc
	v_lshrrev_b32_e32 v14, 23, v2
	v_add3_u32 v14, v10, v7, v14
	v_and_b32_e32 v10, 0x100000, v2
	v_cmp_eq_u64_e32 vcc, 0, v[10:11]
	s_and_b64 vcc, vcc, s[0:1]
	v_subbrev_co_u32_e32 v7, vcc, 0, v2, vcc
	v_and_b32_e32 v7, 0xfffff, v7
	v_add_co_u32_e32 v2, vcc, v7, v2
	v_add_u32_e32 v15, -1, v14
	v_addc_co_u32_e32 v3, vcc, 0, v3, vcc
	v_cmp_ne_u32_e32 vcc, 0, v15
                                        ; implicit-def: $vgpr7
	s_and_saveexec_b64 s[0:1], vcc
	s_xor_b64 s[0:1], exec, s[0:1]
; %bb.66:                               ;   in Loop: Header=BB16_32 Depth=1
	v_and_b32_e32 v10, 0x1000000, v2
	v_cmp_eq_u64_e32 vcc, 0, v[10:11]
	v_bfe_u32 v10, v2, 24, 1
	v_cndmask_b32_e32 v7, v14, v15, vcc
	v_lshrrev_b64 v[2:3], v10, v[2:3]
; %bb.67:                               ;   in Loop: Header=BB16_32 Depth=1
	s_andn2_saveexec_b64 s[0:1], s[0:1]
; %bb.68:                               ;   in Loop: Header=BB16_32 Depth=1
	v_bfe_u32 v7, v2, 23, 1
; %bb.69:                               ;   in Loop: Header=BB16_32 Depth=1
	s_or_b64 exec, exec, s[0:1]
	v_lshrrev_b64 v[2:3], 20, v[2:3]
	v_cmp_gt_i32_e32 vcc, 16, v7
	v_and_b32_sdwa v6, v6, s26 dst_sel:DWORD dst_unused:UNUSED_PAD src0_sel:BYTE_3 src1_sel:DWORD
	v_min_i32_e32 v10, 15, v7
	v_cndmask_b32_e32 v3, 0, v3, vcc
	v_cndmask_b32_e32 v2, 7, v2, vcc
	v_cmp_eq_u32_e32 vcc, 0, v7
	v_cmp_eq_u64_e64 s[0:1], 0, v[2:3]
	v_lshl_or_b32 v3, v10, 3, v6
	v_and_or_b32 v2, v2, 7, v3
	s_and_b64 s[0:1], vcc, s[0:1]
	v_cndmask_b32_e64 v2, v2, 0, s[0:1]
.LBB16_70:                              ;   in Loop: Header=BB16_32 Depth=1
	s_or_b64 exec, exec, s[16:17]
.LBB16_71:                              ;   in Loop: Header=BB16_32 Depth=1
	s_andn2_saveexec_b64 s[0:1], s[14:15]
	s_or_b64 exec, exec, s[0:1]
.LBB16_72:                              ;   in Loop: Header=BB16_32 Depth=1
	s_andn2_saveexec_b64 s[0:1], s[12:13]
	s_or_b64 exec, exec, s[0:1]
	v_fma_mixlo_f16 v3, v1, v4, 0 op_sel_hi:[0,1,0]
	v_mul_f16_e32 v3, v8, v3
	v_cvt_f32_f16_e32 v3, v3
	v_add_u32_e32 v6, 3, v13
	global_store_byte v6, v2, s[2:3]
	v_mul_f32_e32 v2, v16, v3
	v_min_f32_e32 v2, 0x43600000, v2
	v_max_f32_e32 v6, 0xc3600000, v2
	v_and_b32_e32 v10, 0x7f800000, v6
	v_or_b32_sdwa v2, v6, s24 dst_sel:DWORD dst_unused:UNUSED_PAD src0_sel:BYTE_3 src1_sel:DWORD
	v_cmp_ne_u64_e32 vcc, s[6:7], v[10:11]
	s_and_saveexec_b64 s[0:1], vcc
	s_xor_b64 s[12:13], exec, s[0:1]
	s_cbranch_execz .LBB16_82
; %bb.73:                               ;   in Loop: Header=BB16_32 Depth=1
	v_and_b32_e32 v10, 0x7fffffff, v6
	v_cmp_gt_u64_e32 vcc, s[10:11], v[10:11]
	s_and_saveexec_b64 s[0:1], vcc
	s_xor_b64 s[14:15], exec, s[0:1]
	s_cbranch_execz .LBB16_81
; %bb.74:                               ;   in Loop: Header=BB16_32 Depth=1
	v_cmp_ne_u32_e32 vcc, 0, v6
	v_mov_b32_e32 v2, 0
	s_and_saveexec_b64 s[16:17], vcc
	s_cbranch_execz .LBB16_80
; %bb.75:                               ;   in Loop: Header=BB16_32 Depth=1
	v_bfe_u32 v3, v6, 23, 8
	v_and_b32_e32 v2, 0x7fffff, v6
	v_sub_u32_e64 v7, s25, v3 clamp
	v_cmp_eq_u32_e32 vcc, 0, v3
	v_or_b32_e32 v10, 0x800000, v2
	v_cndmask_b32_e32 v7, v7, v17, vcc
	v_cndmask_b32_e32 v10, v10, v2, vcc
	v_add_u32_e32 v2, 20, v7
	v_add_u32_e32 v19, 0xffffff89, v3
	v_lshlrev_b64 v[2:3], v2, -1
	v_not_b32_e32 v2, v2
	v_add_u32_e32 v14, 19, v7
	v_and_b32_e32 v2, v10, v2
	v_mov_b32_e32 v3, v11
	v_lshlrev_b64 v[14:15], v14, 1
	v_cmp_eq_u64_e64 s[0:1], v[2:3], v[14:15]
	v_lshrrev_b64 v[2:3], v7, v[10:11]
	v_cndmask_b32_e32 v10, v19, v18, vcc
	v_lshrrev_b32_e32 v14, 23, v2
	v_add3_u32 v14, v10, v7, v14
	v_and_b32_e32 v10, 0x100000, v2
	v_cmp_eq_u64_e32 vcc, 0, v[10:11]
	s_and_b64 vcc, vcc, s[0:1]
	v_subbrev_co_u32_e32 v7, vcc, 0, v2, vcc
	v_and_b32_e32 v7, 0xfffff, v7
	v_add_co_u32_e32 v2, vcc, v7, v2
	v_add_u32_e32 v15, -1, v14
	v_addc_co_u32_e32 v3, vcc, 0, v3, vcc
	v_cmp_ne_u32_e32 vcc, 0, v15
                                        ; implicit-def: $vgpr7
	s_and_saveexec_b64 s[0:1], vcc
	s_xor_b64 s[0:1], exec, s[0:1]
; %bb.76:                               ;   in Loop: Header=BB16_32 Depth=1
	v_and_b32_e32 v10, 0x1000000, v2
	v_cmp_eq_u64_e32 vcc, 0, v[10:11]
	v_bfe_u32 v10, v2, 24, 1
	v_cndmask_b32_e32 v7, v14, v15, vcc
	v_lshrrev_b64 v[2:3], v10, v[2:3]
; %bb.77:                               ;   in Loop: Header=BB16_32 Depth=1
	s_andn2_saveexec_b64 s[0:1], s[0:1]
; %bb.78:                               ;   in Loop: Header=BB16_32 Depth=1
	v_bfe_u32 v7, v2, 23, 1
; %bb.79:                               ;   in Loop: Header=BB16_32 Depth=1
	s_or_b64 exec, exec, s[0:1]
	v_lshrrev_b64 v[2:3], 20, v[2:3]
	v_cmp_gt_i32_e32 vcc, 16, v7
	v_and_b32_sdwa v6, v6, s26 dst_sel:DWORD dst_unused:UNUSED_PAD src0_sel:BYTE_3 src1_sel:DWORD
	v_min_i32_e32 v10, 15, v7
	v_cndmask_b32_e32 v3, 0, v3, vcc
	v_cndmask_b32_e32 v2, 7, v2, vcc
	v_cmp_eq_u32_e32 vcc, 0, v7
	v_cmp_eq_u64_e64 s[0:1], 0, v[2:3]
	v_lshl_or_b32 v3, v10, 3, v6
	v_and_or_b32 v2, v2, 7, v3
	s_and_b64 s[0:1], vcc, s[0:1]
	v_cndmask_b32_e64 v2, v2, 0, s[0:1]
.LBB16_80:                              ;   in Loop: Header=BB16_32 Depth=1
	s_or_b64 exec, exec, s[16:17]
.LBB16_81:                              ;   in Loop: Header=BB16_32 Depth=1
	s_andn2_saveexec_b64 s[0:1], s[14:15]
	s_or_b64 exec, exec, s[0:1]
.LBB16_82:                              ;   in Loop: Header=BB16_32 Depth=1
	s_andn2_saveexec_b64 s[0:1], s[12:13]
	s_or_b64 exec, exec, s[0:1]
	v_fma_mixlo_f16 v3, v1, v4, 0 op_sel:[0,1,0] op_sel_hi:[0,1,0]
	v_mul_f16_sdwa v3, v8, v3 dst_sel:DWORD dst_unused:UNUSED_PAD src0_sel:WORD_1 src1_sel:DWORD
	v_cvt_f32_f16_e32 v3, v3
	v_add_u32_e32 v4, 4, v13
	global_store_byte v4, v2, s[2:3]
	v_mul_f32_e32 v2, v16, v3
	v_min_f32_e32 v2, 0x43600000, v2
	v_max_f32_e32 v4, 0xc3600000, v2
	v_and_b32_e32 v10, 0x7f800000, v4
	v_or_b32_sdwa v2, v4, s24 dst_sel:DWORD dst_unused:UNUSED_PAD src0_sel:BYTE_3 src1_sel:DWORD
	v_cmp_ne_u64_e32 vcc, s[6:7], v[10:11]
	s_and_saveexec_b64 s[0:1], vcc
	s_xor_b64 s[12:13], exec, s[0:1]
	s_cbranch_execz .LBB16_92
; %bb.83:                               ;   in Loop: Header=BB16_32 Depth=1
	v_and_b32_e32 v10, 0x7fffffff, v4
	v_cmp_gt_u64_e32 vcc, s[10:11], v[10:11]
	s_and_saveexec_b64 s[0:1], vcc
	s_xor_b64 s[14:15], exec, s[0:1]
	s_cbranch_execz .LBB16_91
; %bb.84:                               ;   in Loop: Header=BB16_32 Depth=1
	v_cmp_ne_u32_e32 vcc, 0, v4
	v_mov_b32_e32 v2, 0
	s_and_saveexec_b64 s[16:17], vcc
	s_cbranch_execz .LBB16_90
; %bb.85:                               ;   in Loop: Header=BB16_32 Depth=1
	v_bfe_u32 v3, v4, 23, 8
	v_and_b32_e32 v2, 0x7fffff, v4
	v_sub_u32_e64 v6, s25, v3 clamp
	v_cmp_eq_u32_e32 vcc, 0, v3
	v_or_b32_e32 v7, 0x800000, v2
	v_cndmask_b32_e32 v14, v6, v17, vcc
	v_cndmask_b32_e32 v10, v7, v2, vcc
	v_add_u32_e32 v2, 20, v14
	v_add_u32_e32 v8, 0xffffff89, v3
	v_lshlrev_b64 v[2:3], v2, -1
	v_not_b32_e32 v2, v2
	v_add_u32_e32 v6, 19, v14
	v_and_b32_e32 v2, v10, v2
	v_mov_b32_e32 v3, v11
	v_lshlrev_b64 v[6:7], v6, 1
	v_cmp_eq_u64_e64 s[0:1], v[2:3], v[6:7]
	v_lshrrev_b64 v[2:3], v14, v[10:11]
	v_and_b32_e32 v10, 0x100000, v2
	v_cndmask_b32_e32 v6, v8, v18, vcc
	v_cmp_eq_u64_e32 vcc, 0, v[10:11]
	v_lshrrev_b32_e32 v7, 23, v2
	s_and_b64 vcc, vcc, s[0:1]
	v_add3_u32 v7, v6, v14, v7
	v_subbrev_co_u32_e32 v6, vcc, 0, v2, vcc
	v_and_b32_e32 v6, 0xfffff, v6
	v_add_co_u32_e32 v2, vcc, v6, v2
	v_add_u32_e32 v8, -1, v7
	v_addc_co_u32_e32 v3, vcc, 0, v3, vcc
	v_cmp_ne_u32_e32 vcc, 0, v8
                                        ; implicit-def: $vgpr6
	s_and_saveexec_b64 s[0:1], vcc
	s_xor_b64 s[0:1], exec, s[0:1]
; %bb.86:                               ;   in Loop: Header=BB16_32 Depth=1
	v_and_b32_e32 v10, 0x1000000, v2
	v_cmp_eq_u64_e32 vcc, 0, v[10:11]
	v_cndmask_b32_e32 v6, v7, v8, vcc
	v_bfe_u32 v7, v2, 24, 1
	v_lshrrev_b64 v[2:3], v7, v[2:3]
; %bb.87:                               ;   in Loop: Header=BB16_32 Depth=1
	s_andn2_saveexec_b64 s[0:1], s[0:1]
; %bb.88:                               ;   in Loop: Header=BB16_32 Depth=1
	v_bfe_u32 v6, v2, 23, 1
; %bb.89:                               ;   in Loop: Header=BB16_32 Depth=1
	s_or_b64 exec, exec, s[0:1]
	v_lshrrev_b64 v[2:3], 20, v[2:3]
	v_cmp_gt_i32_e32 vcc, 16, v6
	v_and_b32_sdwa v4, v4, s26 dst_sel:DWORD dst_unused:UNUSED_PAD src0_sel:BYTE_3 src1_sel:DWORD
	v_min_i32_e32 v7, 15, v6
	v_cndmask_b32_e32 v3, 0, v3, vcc
	v_cndmask_b32_e32 v2, 7, v2, vcc
	v_cmp_eq_u32_e32 vcc, 0, v6
	v_cmp_eq_u64_e64 s[0:1], 0, v[2:3]
	v_lshl_or_b32 v3, v7, 3, v4
	v_and_or_b32 v2, v2, 7, v3
	s_and_b64 s[0:1], vcc, s[0:1]
	v_cndmask_b32_e64 v2, v2, 0, s[0:1]
.LBB16_90:                              ;   in Loop: Header=BB16_32 Depth=1
	s_or_b64 exec, exec, s[16:17]
.LBB16_91:                              ;   in Loop: Header=BB16_32 Depth=1
	s_andn2_saveexec_b64 s[0:1], s[14:15]
	s_or_b64 exec, exec, s[0:1]
.LBB16_92:                              ;   in Loop: Header=BB16_32 Depth=1
	s_andn2_saveexec_b64 s[0:1], s[12:13]
	s_or_b64 exec, exec, s[0:1]
	v_fma_mixlo_f16 v3, v1, v5, 0 op_sel_hi:[0,1,0]
	v_mul_f16_e32 v3, v9, v3
	v_cvt_f32_f16_e32 v3, v3
	v_add_u32_e32 v4, 5, v13
	global_store_byte v4, v2, s[2:3]
	v_mul_f32_e32 v2, v16, v3
	v_min_f32_e32 v2, 0x43600000, v2
	v_max_f32_e32 v4, 0xc3600000, v2
	v_and_b32_e32 v10, 0x7f800000, v4
	v_or_b32_sdwa v2, v4, s24 dst_sel:DWORD dst_unused:UNUSED_PAD src0_sel:BYTE_3 src1_sel:DWORD
	v_cmp_ne_u64_e32 vcc, s[6:7], v[10:11]
	s_and_saveexec_b64 s[0:1], vcc
	s_xor_b64 s[12:13], exec, s[0:1]
	s_cbranch_execz .LBB16_102
; %bb.93:                               ;   in Loop: Header=BB16_32 Depth=1
	v_and_b32_e32 v10, 0x7fffffff, v4
	v_cmp_gt_u64_e32 vcc, s[10:11], v[10:11]
	s_and_saveexec_b64 s[0:1], vcc
	s_xor_b64 s[14:15], exec, s[0:1]
	s_cbranch_execz .LBB16_101
; %bb.94:                               ;   in Loop: Header=BB16_32 Depth=1
	v_cmp_ne_u32_e32 vcc, 0, v4
	v_mov_b32_e32 v2, 0
	s_and_saveexec_b64 s[16:17], vcc
	s_cbranch_execz .LBB16_100
; %bb.95:                               ;   in Loop: Header=BB16_32 Depth=1
	v_bfe_u32 v3, v4, 23, 8
	v_and_b32_e32 v2, 0x7fffff, v4
	v_sub_u32_e64 v6, s25, v3 clamp
	v_cmp_eq_u32_e32 vcc, 0, v3
	v_or_b32_e32 v7, 0x800000, v2
	v_cndmask_b32_e32 v14, v6, v17, vcc
	v_cndmask_b32_e32 v10, v7, v2, vcc
	v_add_u32_e32 v2, 20, v14
	v_add_u32_e32 v8, 0xffffff89, v3
	v_lshlrev_b64 v[2:3], v2, -1
	v_not_b32_e32 v2, v2
	v_add_u32_e32 v6, 19, v14
	v_and_b32_e32 v2, v10, v2
	v_mov_b32_e32 v3, v11
	v_lshlrev_b64 v[6:7], v6, 1
	v_cmp_eq_u64_e64 s[0:1], v[2:3], v[6:7]
	v_lshrrev_b64 v[2:3], v14, v[10:11]
	v_and_b32_e32 v10, 0x100000, v2
	v_cndmask_b32_e32 v6, v8, v18, vcc
	v_cmp_eq_u64_e32 vcc, 0, v[10:11]
	v_lshrrev_b32_e32 v7, 23, v2
	s_and_b64 vcc, vcc, s[0:1]
	v_add3_u32 v7, v6, v14, v7
	v_subbrev_co_u32_e32 v6, vcc, 0, v2, vcc
	v_and_b32_e32 v6, 0xfffff, v6
	v_add_co_u32_e32 v2, vcc, v6, v2
	v_add_u32_e32 v8, -1, v7
	v_addc_co_u32_e32 v3, vcc, 0, v3, vcc
	v_cmp_ne_u32_e32 vcc, 0, v8
                                        ; implicit-def: $vgpr6
	s_and_saveexec_b64 s[0:1], vcc
	s_xor_b64 s[0:1], exec, s[0:1]
; %bb.96:                               ;   in Loop: Header=BB16_32 Depth=1
	v_and_b32_e32 v10, 0x1000000, v2
	v_cmp_eq_u64_e32 vcc, 0, v[10:11]
	v_cndmask_b32_e32 v6, v7, v8, vcc
	v_bfe_u32 v7, v2, 24, 1
	v_lshrrev_b64 v[2:3], v7, v[2:3]
; %bb.97:                               ;   in Loop: Header=BB16_32 Depth=1
	s_andn2_saveexec_b64 s[0:1], s[0:1]
; %bb.98:                               ;   in Loop: Header=BB16_32 Depth=1
	v_bfe_u32 v6, v2, 23, 1
; %bb.99:                               ;   in Loop: Header=BB16_32 Depth=1
	s_or_b64 exec, exec, s[0:1]
	v_lshrrev_b64 v[2:3], 20, v[2:3]
	v_cmp_gt_i32_e32 vcc, 16, v6
	v_and_b32_sdwa v4, v4, s26 dst_sel:DWORD dst_unused:UNUSED_PAD src0_sel:BYTE_3 src1_sel:DWORD
	v_min_i32_e32 v7, 15, v6
	v_cndmask_b32_e32 v3, 0, v3, vcc
	v_cndmask_b32_e32 v2, 7, v2, vcc
	v_cmp_eq_u32_e32 vcc, 0, v6
	v_cmp_eq_u64_e64 s[0:1], 0, v[2:3]
	v_lshl_or_b32 v3, v7, 3, v4
	v_and_or_b32 v2, v2, 7, v3
	s_and_b64 s[0:1], vcc, s[0:1]
	v_cndmask_b32_e64 v2, v2, 0, s[0:1]
.LBB16_100:                             ;   in Loop: Header=BB16_32 Depth=1
	s_or_b64 exec, exec, s[16:17]
.LBB16_101:                             ;   in Loop: Header=BB16_32 Depth=1
	s_andn2_saveexec_b64 s[0:1], s[14:15]
	s_or_b64 exec, exec, s[0:1]
.LBB16_102:                             ;   in Loop: Header=BB16_32 Depth=1
	s_andn2_saveexec_b64 s[0:1], s[12:13]
	s_or_b64 exec, exec, s[0:1]
	v_fma_mixlo_f16 v3, v1, v5, 0 op_sel:[0,1,0] op_sel_hi:[0,1,0]
	v_mul_f16_sdwa v3, v9, v3 dst_sel:DWORD dst_unused:UNUSED_PAD src0_sel:WORD_1 src1_sel:DWORD
	v_cvt_f32_f16_e32 v3, v3
	v_add_u32_e32 v4, 6, v13
	global_store_byte v4, v2, s[2:3]
	v_mul_f32_e32 v2, v16, v3
	v_min_f32_e32 v2, 0x43600000, v2
	v_max_f32_e32 v4, 0xc3600000, v2
	v_and_b32_e32 v10, 0x7f800000, v4
	v_or_b32_sdwa v2, v4, s24 dst_sel:DWORD dst_unused:UNUSED_PAD src0_sel:BYTE_3 src1_sel:DWORD
	v_cmp_ne_u64_e32 vcc, s[6:7], v[10:11]
	s_and_saveexec_b64 s[0:1], vcc
	s_xor_b64 s[12:13], exec, s[0:1]
	s_cbranch_execz .LBB16_31
; %bb.103:                              ;   in Loop: Header=BB16_32 Depth=1
	v_and_b32_e32 v10, 0x7fffffff, v4
	v_cmp_gt_u64_e32 vcc, s[10:11], v[10:11]
	s_and_saveexec_b64 s[0:1], vcc
	s_xor_b64 s[14:15], exec, s[0:1]
	s_cbranch_execz .LBB16_30
; %bb.104:                              ;   in Loop: Header=BB16_32 Depth=1
	v_cmp_ne_u32_e32 vcc, 0, v4
	v_mov_b32_e32 v2, 0
	s_and_saveexec_b64 s[16:17], vcc
	s_cbranch_execz .LBB16_29
; %bb.105:                              ;   in Loop: Header=BB16_32 Depth=1
	v_bfe_u32 v3, v4, 23, 8
	v_and_b32_e32 v2, 0x7fffff, v4
	v_sub_u32_e64 v5, s25, v3 clamp
	v_cmp_eq_u32_e32 vcc, 0, v3
	v_or_b32_e32 v6, 0x800000, v2
	v_cndmask_b32_e32 v5, v5, v17, vcc
	v_cndmask_b32_e32 v10, v6, v2, vcc
	v_add_u32_e32 v2, 20, v5
	v_add_u32_e32 v8, 0xffffff89, v3
	v_lshlrev_b64 v[2:3], v2, -1
	v_not_b32_e32 v2, v2
	v_add_u32_e32 v6, 19, v5
	v_and_b32_e32 v2, v10, v2
	v_mov_b32_e32 v3, v11
	v_lshlrev_b64 v[6:7], v6, 1
	v_cmp_eq_u64_e64 s[0:1], v[2:3], v[6:7]
	v_lshrrev_b64 v[2:3], v5, v[10:11]
	v_and_b32_e32 v10, 0x100000, v2
	v_cndmask_b32_e32 v6, v8, v18, vcc
	v_cmp_eq_u64_e32 vcc, 0, v[10:11]
	v_lshrrev_b32_e32 v7, 23, v2
	s_and_b64 vcc, vcc, s[0:1]
	v_add3_u32 v6, v6, v5, v7
	v_subbrev_co_u32_e32 v5, vcc, 0, v2, vcc
	v_and_b32_e32 v5, 0xfffff, v5
	v_add_co_u32_e32 v2, vcc, v5, v2
	v_add_u32_e32 v7, -1, v6
	v_addc_co_u32_e32 v3, vcc, 0, v3, vcc
	v_cmp_ne_u32_e32 vcc, 0, v7
                                        ; implicit-def: $vgpr5
	s_and_saveexec_b64 s[0:1], vcc
	s_xor_b64 s[0:1], exec, s[0:1]
; %bb.106:                              ;   in Loop: Header=BB16_32 Depth=1
	v_and_b32_e32 v10, 0x1000000, v2
	v_cmp_eq_u64_e32 vcc, 0, v[10:11]
	v_cndmask_b32_e32 v5, v6, v7, vcc
	v_bfe_u32 v6, v2, 24, 1
	v_lshrrev_b64 v[2:3], v6, v[2:3]
; %bb.107:                              ;   in Loop: Header=BB16_32 Depth=1
	s_andn2_saveexec_b64 s[0:1], s[0:1]
	s_cbranch_execz .LBB16_28
; %bb.108:                              ;   in Loop: Header=BB16_32 Depth=1
	v_bfe_u32 v5, v2, 23, 1
	s_branch .LBB16_28
.LBB16_109:
	s_endpgm
	.section	.rodata,"a",@progbits
	.p2align	6, 0x0
	.amdhsa_kernel _ZN4vllm32rms_norm_static_fp8_quant_kernelIN3c104HalfENS1_15Float8_e4m3fnuzELi8EEEvPT0_PKT_iS8_PKffii
		.amdhsa_group_segment_fixed_size 68
		.amdhsa_private_segment_fixed_size 0
		.amdhsa_kernarg_size 312
		.amdhsa_user_sgpr_count 6
		.amdhsa_user_sgpr_private_segment_buffer 1
		.amdhsa_user_sgpr_dispatch_ptr 0
		.amdhsa_user_sgpr_queue_ptr 0
		.amdhsa_user_sgpr_kernarg_segment_ptr 1
		.amdhsa_user_sgpr_dispatch_id 0
		.amdhsa_user_sgpr_flat_scratch_init 0
		.amdhsa_user_sgpr_kernarg_preload_length 0
		.amdhsa_user_sgpr_kernarg_preload_offset 0
		.amdhsa_user_sgpr_private_segment_size 0
		.amdhsa_uses_dynamic_stack 0
		.amdhsa_system_sgpr_private_segment_wavefront_offset 0
		.amdhsa_system_sgpr_workgroup_id_x 1
		.amdhsa_system_sgpr_workgroup_id_y 0
		.amdhsa_system_sgpr_workgroup_id_z 0
		.amdhsa_system_sgpr_workgroup_info 0
		.amdhsa_system_vgpr_workitem_id 0
		.amdhsa_next_free_vgpr 24
		.amdhsa_next_free_sgpr 27
		.amdhsa_accum_offset 24
		.amdhsa_reserve_vcc 1
		.amdhsa_reserve_flat_scratch 0
		.amdhsa_float_round_mode_32 0
		.amdhsa_float_round_mode_16_64 0
		.amdhsa_float_denorm_mode_32 3
		.amdhsa_float_denorm_mode_16_64 3
		.amdhsa_dx10_clamp 1
		.amdhsa_ieee_mode 1
		.amdhsa_fp16_overflow 0
		.amdhsa_tg_split 0
		.amdhsa_exception_fp_ieee_invalid_op 0
		.amdhsa_exception_fp_denorm_src 0
		.amdhsa_exception_fp_ieee_div_zero 0
		.amdhsa_exception_fp_ieee_overflow 0
		.amdhsa_exception_fp_ieee_underflow 0
		.amdhsa_exception_fp_ieee_inexact 0
		.amdhsa_exception_int_div_zero 0
	.end_amdhsa_kernel
	.section	.text._ZN4vllm32rms_norm_static_fp8_quant_kernelIN3c104HalfENS1_15Float8_e4m3fnuzELi8EEEvPT0_PKT_iS8_PKffii,"axG",@progbits,_ZN4vllm32rms_norm_static_fp8_quant_kernelIN3c104HalfENS1_15Float8_e4m3fnuzELi8EEEvPT0_PKT_iS8_PKffii,comdat
.Lfunc_end16:
	.size	_ZN4vllm32rms_norm_static_fp8_quant_kernelIN3c104HalfENS1_15Float8_e4m3fnuzELi8EEEvPT0_PKT_iS8_PKffii, .Lfunc_end16-_ZN4vllm32rms_norm_static_fp8_quant_kernelIN3c104HalfENS1_15Float8_e4m3fnuzELi8EEEvPT0_PKT_iS8_PKffii
                                        ; -- End function
	.section	.AMDGPU.csdata,"",@progbits
; Kernel info:
; codeLenInByte = 5388
; NumSgprs: 31
; NumVgprs: 24
; NumAgprs: 0
; TotalNumVgprs: 24
; ScratchSize: 0
; MemoryBound: 0
; FloatMode: 240
; IeeeMode: 1
; LDSByteSize: 68 bytes/workgroup (compile time only)
; SGPRBlocks: 3
; VGPRBlocks: 2
; NumSGPRsForWavesPerEU: 31
; NumVGPRsForWavesPerEU: 24
; AccumOffset: 24
; Occupancy: 8
; WaveLimiterHint : 0
; COMPUTE_PGM_RSRC2:SCRATCH_EN: 0
; COMPUTE_PGM_RSRC2:USER_SGPR: 6
; COMPUTE_PGM_RSRC2:TRAP_HANDLER: 0
; COMPUTE_PGM_RSRC2:TGID_X_EN: 1
; COMPUTE_PGM_RSRC2:TGID_Y_EN: 0
; COMPUTE_PGM_RSRC2:TGID_Z_EN: 0
; COMPUTE_PGM_RSRC2:TIDIG_COMP_CNT: 0
; COMPUTE_PGM_RSRC3_GFX90A:ACCUM_OFFSET: 5
; COMPUTE_PGM_RSRC3_GFX90A:TG_SPLIT: 0
	.section	.text._ZN4vllm32rms_norm_static_fp8_quant_kernelIN3c104HalfENS1_15Float8_e4m3fnuzELi4EEEvPT0_PKT_iS8_PKffii,"axG",@progbits,_ZN4vllm32rms_norm_static_fp8_quant_kernelIN3c104HalfENS1_15Float8_e4m3fnuzELi4EEEvPT0_PKT_iS8_PKffii,comdat
	.protected	_ZN4vllm32rms_norm_static_fp8_quant_kernelIN3c104HalfENS1_15Float8_e4m3fnuzELi4EEEvPT0_PKT_iS8_PKffii ; -- Begin function _ZN4vllm32rms_norm_static_fp8_quant_kernelIN3c104HalfENS1_15Float8_e4m3fnuzELi4EEEvPT0_PKT_iS8_PKffii
	.globl	_ZN4vllm32rms_norm_static_fp8_quant_kernelIN3c104HalfENS1_15Float8_e4m3fnuzELi4EEEvPT0_PKT_iS8_PKffii
	.p2align	8
	.type	_ZN4vllm32rms_norm_static_fp8_quant_kernelIN3c104HalfENS1_15Float8_e4m3fnuzELi4EEEvPT0_PKT_iS8_PKffii,@function
_ZN4vllm32rms_norm_static_fp8_quant_kernelIN3c104HalfENS1_15Float8_e4m3fnuzELi4EEEvPT0_PKT_iS8_PKffii: ; @_ZN4vllm32rms_norm_static_fp8_quant_kernelIN3c104HalfENS1_15Float8_e4m3fnuzELi4EEEvPT0_PKT_iS8_PKffii
; %bb.0:
	s_load_dword s2, s[4:5], 0x10
	s_load_dwordx2 s[0:1], s[4:5], 0x8
	s_load_dword s7, s[4:5], 0x30
	s_load_dword s10, s[4:5], 0x44
	s_mov_b32 s9, 0
	s_waitcnt lgkmcnt(0)
	s_mul_i32 s8, s6, s2
	s_lshl_b64 s[2:3], s[8:9], 1
	s_add_u32 s18, s0, s2
	s_addc_u32 s19, s1, s3
	s_and_b32 s20, s10, 0xffff
	s_and_b32 s8, s18, 7
	s_cmp_lg_u64 s[8:9], 0
	s_cselect_b64 s[8:9], -1, 0
	s_and_b32 s10, s7, 3
	s_cmp_lg_u32 s10, 0
	s_cselect_b64 s[10:11], -1, 0
	s_or_b64 s[8:9], s[8:9], s[10:11]
	s_and_b64 vcc, exec, s[8:9]
	s_cbranch_vccz .LBB17_14
; %bb.1:
	s_sub_i32 s8, 0, s18
	s_bfe_u32 s8, s8, 0x20001
	s_min_i32 s8, s8, s7
	v_cmp_gt_i32_e32 vcc, s8, v0
	v_mov_b32_e32 v1, 0
	s_and_saveexec_b64 s[10:11], vcc
	s_cbranch_execz .LBB17_5
; %bb.2:
	s_add_u32 s9, s0, s2
	v_lshlrev_b32_e32 v1, 1, v0
	s_addc_u32 s12, s1, s3
	s_mov_b32 s14, 0
	v_mov_b32_e32 v3, s12
	v_add_co_u32_e32 v2, vcc, s9, v1
	v_addc_co_u32_e32 v3, vcc, 0, v3, vcc
	s_lshl_b32 s9, s20, 1
	s_mov_b64 s[12:13], 0
	v_mov_b32_e32 v1, 0
	v_mov_b32_e32 v4, s14
	;; [unrolled: 1-line block ×3, first 2 shown]
.LBB17_3:                               ; =>This Inner Loop Header: Depth=1
	global_load_ushort v6, v[2:3], off
	v_add_co_u32_e32 v2, vcc, s9, v2
	v_add_u32_e32 v5, s20, v5
	v_addc_co_u32_e32 v3, vcc, v3, v4, vcc
	v_cmp_le_i32_e32 vcc, s8, v5
	s_or_b64 s[12:13], vcc, s[12:13]
	s_waitcnt vmcnt(0)
	v_fma_mix_f32 v1, v6, v6, v1 op_sel_hi:[1,1,0]
	s_andn2_b64 exec, exec, s[12:13]
	s_cbranch_execnz .LBB17_3
; %bb.4:
	s_or_b64 exec, exec, s[12:13]
.LBB17_5:
	s_or_b64 exec, exec, s[10:11]
	s_sub_i32 s14, s7, s8
	s_ashr_i32 s10, s14, 31
	s_lshr_b32 s10, s10, 30
	s_add_i32 s10, s14, s10
	s_ashr_i32 s15, s10, 2
	s_ashr_i32 s9, s8, 31
	v_cmp_gt_i32_e32 vcc, s15, v0
	s_and_saveexec_b64 s[10:11], vcc
	s_cbranch_execz .LBB17_9
; %bb.6:
	s_lshl_b64 s[12:13], s[8:9], 1
	s_add_u32 s16, s0, s2
	s_addc_u32 s21, s1, s3
	s_add_u32 s12, s16, s12
	v_lshlrev_b32_e32 v2, 3, v0
	s_addc_u32 s13, s21, s13
	v_mov_b32_e32 v3, s13
	v_add_co_u32_e32 v2, vcc, s12, v2
	v_addc_co_u32_e32 v3, vcc, 0, v3, vcc
	s_mov_b32 s17, 0
	v_add_co_u32_e32 v2, vcc, 4, v2
	v_addc_co_u32_e32 v3, vcc, 0, v3, vcc
	s_lshl_b32 s16, s20, 3
	s_mov_b64 s[12:13], 0
	v_mov_b32_e32 v4, s17
	v_mov_b32_e32 v5, v0
.LBB17_7:                               ; =>This Inner Loop Header: Depth=1
	global_load_dwordx2 v[6:7], v[2:3], off offset:-4
	v_add_co_u32_e32 v2, vcc, s16, v2
	v_add_u32_e32 v5, s20, v5
	v_addc_co_u32_e32 v3, vcc, v3, v4, vcc
	v_cmp_le_i32_e32 vcc, s15, v5
	s_or_b64 s[12:13], vcc, s[12:13]
	s_waitcnt vmcnt(0)
	v_fma_mix_f32 v1, v6, v6, v1 op_sel_hi:[1,1,0]
	v_fma_mix_f32 v1, v6, v6, v1 op_sel:[1,1,0] op_sel_hi:[1,1,0]
	v_fma_mix_f32 v1, v7, v7, v1 op_sel_hi:[1,1,0]
	v_fma_mix_f32 v1, v7, v7, v1 op_sel:[1,1,0] op_sel_hi:[1,1,0]
	s_andn2_b64 exec, exec, s[12:13]
	s_cbranch_execnz .LBB17_7
; %bb.8:
	s_or_b64 exec, exec, s[12:13]
.LBB17_9:
	s_or_b64 exec, exec, s[10:11]
	v_lshl_add_u32 v2, s15, 2, v0
	v_cmp_gt_i32_e32 vcc, s14, v2
	s_and_saveexec_b64 s[10:11], vcc
	s_cbranch_execz .LBB17_13
; %bb.10:
	s_lshl_b64 s[8:9], s[8:9], 1
	s_add_u32 s12, s0, s2
	s_addc_u32 s13, s1, s3
	v_ashrrev_i32_e32 v3, 31, v2
	s_add_u32 s8, s12, s8
	v_lshlrev_b64 v[4:5], 1, v[2:3]
	s_addc_u32 s9, s13, s9
	v_mov_b32_e32 v3, s9
	v_add_co_u32_e32 v4, vcc, s8, v4
	s_mov_b32 s13, 0
	v_addc_co_u32_e32 v5, vcc, v3, v5, vcc
	s_lshl_b32 s12, s20, 1
	s_mov_b64 s[8:9], 0
	v_mov_b32_e32 v3, s13
.LBB17_11:                              ; =>This Inner Loop Header: Depth=1
	global_load_ushort v6, v[4:5], off
	v_add_co_u32_e32 v4, vcc, s12, v4
	v_add_u32_e32 v2, s20, v2
	v_addc_co_u32_e32 v5, vcc, v5, v3, vcc
	v_cmp_le_i32_e32 vcc, s14, v2
	s_or_b64 s[8:9], vcc, s[8:9]
	s_waitcnt vmcnt(0)
	v_fma_mix_f32 v1, v6, v6, v1 op_sel_hi:[1,1,0]
	s_andn2_b64 exec, exec, s[8:9]
	s_cbranch_execnz .LBB17_11
; %bb.12:
	s_or_b64 exec, exec, s[8:9]
.LBB17_13:
	s_or_b64 exec, exec, s[10:11]
	s_branch .LBB17_20
.LBB17_14:
                                        ; implicit-def: $vgpr1
	s_cbranch_execz .LBB17_20
; %bb.15:
	s_ashr_i32 s10, s7, 2
	v_cmp_gt_i32_e32 vcc, s10, v0
	v_mov_b32_e32 v1, 0
	s_and_saveexec_b64 s[8:9], vcc
	s_cbranch_execz .LBB17_19
; %bb.16:
	s_add_u32 s0, s0, s2
	v_lshlrev_b32_e32 v1, 3, v0
	s_addc_u32 s1, s1, s3
	v_mov_b32_e32 v2, s1
	v_add_co_u32_e32 v1, vcc, s0, v1
	v_addc_co_u32_e32 v3, vcc, 0, v2, vcc
	s_mov_b32 s11, 0
	v_add_co_u32_e32 v2, vcc, 4, v1
	v_addc_co_u32_e32 v3, vcc, 0, v3, vcc
	s_lshl_b32 s2, s20, 3
	s_mov_b64 s[0:1], 0
	v_mov_b32_e32 v1, 0
	v_mov_b32_e32 v4, s11
	;; [unrolled: 1-line block ×3, first 2 shown]
.LBB17_17:                              ; =>This Inner Loop Header: Depth=1
	global_load_dwordx2 v[6:7], v[2:3], off offset:-4
	v_add_co_u32_e32 v2, vcc, s2, v2
	v_add_u32_e32 v5, s20, v5
	v_addc_co_u32_e32 v3, vcc, v3, v4, vcc
	v_cmp_le_i32_e32 vcc, s10, v5
	s_or_b64 s[0:1], vcc, s[0:1]
	s_waitcnt vmcnt(0)
	v_fma_mix_f32 v1, v6, v6, v1 op_sel_hi:[1,1,0]
	v_fma_mix_f32 v1, v6, v6, v1 op_sel:[1,1,0] op_sel_hi:[1,1,0]
	v_fma_mix_f32 v1, v7, v7, v1 op_sel_hi:[1,1,0]
	v_fma_mix_f32 v1, v7, v7, v1 op_sel:[1,1,0] op_sel_hi:[1,1,0]
	s_andn2_b64 exec, exec, s[0:1]
	s_cbranch_execnz .LBB17_17
; %bb.18:
	s_or_b64 exec, exec, s[0:1]
.LBB17_19:
	s_or_b64 exec, exec, s[8:9]
.LBB17_20:
	v_mbcnt_lo_u32_b32 v2, -1, 0
	v_mbcnt_hi_u32_b32 v2, -1, v2
	v_and_b32_e32 v3, 63, v2
	v_cmp_ne_u32_e32 vcc, 63, v3
	v_addc_co_u32_e32 v4, vcc, 0, v2, vcc
	v_lshlrev_b32_e32 v4, 2, v4
	ds_bpermute_b32 v4, v4, v1
	v_and_b32_e32 v5, 0x3c0, v0
	v_sub_u32_e64 v5, s20, v5 clamp
	v_add_u32_e32 v6, 1, v2
	v_cmp_lt_u32_e32 vcc, v6, v5
	s_waitcnt lgkmcnt(0)
	v_add_f32_e32 v4, v1, v4
	v_cndmask_b32_e32 v1, v1, v4, vcc
	v_cmp_gt_u32_e32 vcc, 62, v3
	v_cndmask_b32_e64 v4, 0, 1, vcc
	v_lshlrev_b32_e32 v4, 1, v4
	v_add_lshl_u32 v4, v4, v2, 2
	ds_bpermute_b32 v4, v4, v1
	v_add_u32_e32 v6, 2, v2
	v_cmp_lt_u32_e32 vcc, v6, v5
	v_add_u32_e32 v6, 4, v2
	s_waitcnt lgkmcnt(0)
	v_add_f32_e32 v4, v1, v4
	v_cndmask_b32_e32 v1, v1, v4, vcc
	v_cmp_gt_u32_e32 vcc, 60, v3
	v_cndmask_b32_e64 v4, 0, 1, vcc
	v_lshlrev_b32_e32 v4, 2, v4
	v_add_lshl_u32 v4, v4, v2, 2
	ds_bpermute_b32 v4, v4, v1
	v_cmp_lt_u32_e32 vcc, v6, v5
	v_add_u32_e32 v6, 8, v2
	s_waitcnt lgkmcnt(0)
	v_add_f32_e32 v4, v1, v4
	v_cndmask_b32_e32 v1, v1, v4, vcc
	v_cmp_gt_u32_e32 vcc, 56, v3
	v_cndmask_b32_e64 v4, 0, 1, vcc
	v_lshlrev_b32_e32 v4, 3, v4
	v_add_lshl_u32 v4, v4, v2, 2
	ds_bpermute_b32 v4, v4, v1
	;; [unrolled: 10-line block ×3, first 2 shown]
	v_cmp_lt_u32_e32 vcc, v6, v5
	s_waitcnt lgkmcnt(0)
	v_add_f32_e32 v4, v1, v4
	v_cndmask_b32_e32 v1, v1, v4, vcc
	v_cmp_gt_u32_e32 vcc, 32, v3
	v_cndmask_b32_e64 v3, 0, 1, vcc
	v_lshlrev_b32_e32 v3, 5, v3
	v_add_lshl_u32 v3, v3, v2, 2
	ds_bpermute_b32 v3, v3, v1
	v_add_u32_e32 v4, 32, v2
	v_cmp_lt_u32_e32 vcc, v4, v5
	s_waitcnt lgkmcnt(0)
	v_add_f32_e32 v3, v1, v3
	v_cndmask_b32_e32 v1, v1, v3, vcc
	v_cmp_eq_u32_e32 vcc, 0, v2
	s_and_saveexec_b64 s[0:1], vcc
	s_cbranch_execz .LBB17_22
; %bb.21:
	v_lshrrev_b32_e32 v3, 4, v0
	v_and_b32_e32 v3, 60, v3
	ds_write_b32 v3, v1
.LBB17_22:
	s_or_b64 exec, exec, s[0:1]
	v_cmp_gt_u32_e32 vcc, 16, v0
	s_waitcnt lgkmcnt(0)
	s_barrier
	s_and_saveexec_b64 s[2:3], vcc
	s_cbranch_execz .LBB17_24
; %bb.23:
	v_lshlrev_b32_e32 v1, 2, v2
	ds_read_b32 v1, v1
	v_and_b32_e32 v3, 15, v2
	v_cmp_ne_u32_e32 vcc, 15, v3
	v_addc_co_u32_e32 v4, vcc, 0, v2, vcc
	v_lshlrev_b32_e32 v4, 2, v4
	s_waitcnt lgkmcnt(0)
	ds_bpermute_b32 v4, v4, v1
	s_add_i32 s0, s20, 63
	s_lshr_b32 s8, s0, 6
	v_add_u32_e32 v5, 1, v3
	v_cmp_gt_u32_e64 s[0:1], 14, v3
	v_cmp_gt_u32_e32 vcc, s8, v5
	v_cndmask_b32_e64 v5, 0, 1, s[0:1]
	s_waitcnt lgkmcnt(0)
	v_add_f32_e32 v4, v1, v4
	v_lshlrev_b32_e32 v5, 1, v5
	v_cndmask_b32_e32 v4, v1, v4, vcc
	v_add_lshl_u32 v5, v5, v2, 2
	ds_bpermute_b32 v5, v5, v4
	v_add_u32_e32 v6, 2, v3
	v_cmp_gt_u32_e64 s[0:1], s8, v6
	v_add_u32_e32 v6, 4, v3
	s_waitcnt lgkmcnt(0)
	v_add_f32_e32 v5, v4, v5
	v_cndmask_b32_e64 v4, v4, v5, s[0:1]
	v_cmp_gt_u32_e64 s[0:1], 12, v3
	v_cndmask_b32_e64 v5, 0, 1, s[0:1]
	v_lshlrev_b32_e32 v5, 2, v5
	v_add_lshl_u32 v5, v5, v2, 2
	ds_bpermute_b32 v5, v5, v4
	v_cmp_gt_u32_e64 s[0:1], s8, v6
	s_waitcnt lgkmcnt(0)
	v_add_f32_e32 v5, v4, v5
	v_cndmask_b32_e64 v4, v4, v5, s[0:1]
	v_cmp_gt_u32_e64 s[0:1], 8, v3
	v_cndmask_b32_e64 v5, 0, 1, s[0:1]
	v_lshlrev_b32_e32 v5, 3, v5
	v_add_lshl_u32 v2, v5, v2, 2
	ds_bpermute_b32 v2, v2, v4
	v_add_u32_e32 v3, 8, v3
	v_cmp_gt_u32_e64 s[0:1], s8, v3
	s_waitcnt lgkmcnt(0)
	v_add_f32_e32 v2, v4, v2
	v_cndmask_b32_e64 v2, v4, v2, s[0:1]
	v_cndmask_b32_e32 v1, v1, v2, vcc
.LBB17_24:
	s_or_b64 exec, exec, s[2:3]
	v_cmp_eq_u32_e32 vcc, 0, v0
	s_and_saveexec_b64 s[0:1], vcc
	s_cbranch_execz .LBB17_26
; %bb.25:
	v_cvt_f32_i32_e32 v2, s7
	s_load_dword s8, s[4:5], 0x28
	v_div_scale_f32 v3, s[2:3], v2, v2, v1
	v_rcp_f32_e32 v4, v3
	v_div_scale_f32 v5, vcc, v1, v2, v1
	s_mov_b32 s2, 0x800000
	v_fma_f32 v6, -v3, v4, 1.0
	v_fmac_f32_e32 v4, v6, v4
	v_mul_f32_e32 v6, v5, v4
	v_fma_f32 v7, -v3, v6, v5
	v_fmac_f32_e32 v6, v7, v4
	v_fma_f32 v3, -v3, v6, v5
	v_div_fmas_f32 v3, v3, v4, v6
	v_div_fixup_f32 v1, v3, v2, v1
	s_waitcnt lgkmcnt(0)
	v_add_f32_e32 v1, s8, v1
	v_mul_f32_e32 v2, 0x4b800000, v1
	v_cmp_gt_f32_e32 vcc, s2, v1
	v_cndmask_b32_e32 v1, v1, v2, vcc
	v_rsq_f32_e32 v1, v1
	v_mul_f32_e32 v2, 0x45800000, v1
	v_cndmask_b32_e32 v1, v1, v2, vcc
	v_mov_b32_e32 v2, 0
	ds_write_b32 v2, v1 offset:64
.LBB17_26:
	s_or_b64 exec, exec, s[0:1]
	s_ashr_i32 s0, s7, 31
	s_lshr_b32 s0, s0, 30
	s_add_i32 s0, s7, s0
	s_ashr_i32 s21, s0, 2
	v_cmp_gt_i32_e32 vcc, s21, v0
	s_waitcnt lgkmcnt(0)
	s_barrier
	s_and_saveexec_b64 s[0:1], vcc
	s_cbranch_execz .LBB17_69
; %bb.27:
	s_load_dwordx4 s[8:11], s[4:5], 0x18
	s_load_dwordx2 s[2:3], s[4:5], 0x0
	v_mov_b32_e32 v3, 0
	ds_read_b32 v1, v3 offset:64
	s_mul_i32 s6, s6, s7
	s_waitcnt lgkmcnt(0)
	s_load_dword s4, s[10:11], 0x0
	s_lshl_b32 s22, s20, 2
	v_lshlrev_b32_e32 v4, 3, v0
	v_lshl_add_u32 v5, v0, 2, s6
	s_lshl_b32 s23, s20, 3
	s_waitcnt lgkmcnt(0)
	v_div_scale_f32 v2, s[0:1], s4, s4, 1.0
	v_rcp_f32_e32 v6, v2
	v_div_scale_f32 v7, vcc, 1.0, s4, 1.0
	s_movk_i32 s24, 0x7f
	v_fma_f32 v8, -v2, v6, 1.0
	v_fmac_f32_e32 v6, v8, v6
	v_mul_f32_e32 v8, v7, v6
	v_fma_f32 v9, -v2, v8, v7
	v_fmac_f32_e32 v8, v9, v6
	v_fma_f32 v2, -v2, v8, v7
	v_div_fmas_f32 v2, v2, v6, v8
	v_div_fixup_f32 v12, v2, s4, 1.0
	s_mov_b64 s[4:5], 0
	s_mov_b64 s[6:7], 0x7f800000
	;; [unrolled: 1-line block ×3, first 2 shown]
	s_movk_i32 s25, 0x78
	s_movk_i32 s26, 0x80
	v_mov_b32_e32 v13, 0x77
	v_mov_b32_e32 v14, 0xffffff8a
	s_branch .LBB17_32
.LBB17_28:                              ;   in Loop: Header=BB17_32 Depth=1
	s_or_b64 exec, exec, s[0:1]
	v_lshrrev_b64 v[6:7], 20, v[6:7]
	v_cmp_gt_i32_e32 vcc, 16, v2
	v_and_b32_sdwa v8, v8, s26 dst_sel:DWORD dst_unused:UNUSED_PAD src0_sel:BYTE_3 src1_sel:DWORD
	v_min_i32_e32 v9, 15, v2
	v_cndmask_b32_e32 v7, 0, v7, vcc
	v_cndmask_b32_e32 v6, 7, v6, vcc
	v_cmp_eq_u32_e32 vcc, 0, v2
	v_cmp_eq_u64_e64 s[0:1], 0, v[6:7]
	v_lshl_or_b32 v2, v9, 3, v8
	v_and_or_b32 v2, v6, 7, v2
	s_and_b64 s[0:1], vcc, s[0:1]
	v_cndmask_b32_e64 v6, v2, 0, s[0:1]
.LBB17_29:                              ;   in Loop: Header=BB17_32 Depth=1
	s_or_b64 exec, exec, s[16:17]
.LBB17_30:                              ;   in Loop: Header=BB17_32 Depth=1
	s_andn2_saveexec_b64 s[0:1], s[14:15]
	s_or_b64 exec, exec, s[0:1]
.LBB17_31:                              ;   in Loop: Header=BB17_32 Depth=1
	s_andn2_saveexec_b64 s[0:1], s[12:13]
	s_or_b64 exec, exec, s[0:1]
	s_add_u32 s8, s8, s23
	s_addc_u32 s9, s9, 0
	v_add_u32_e32 v0, s20, v0
	s_add_u32 s18, s18, s23
	s_addc_u32 s19, s19, 0
	v_cmp_le_i32_e32 vcc, s21, v0
	v_add_u32_e32 v2, 3, v5
	s_or_b64 s[4:5], vcc, s[4:5]
	v_add_u32_e32 v5, s22, v5
	global_store_byte v2, v6, s[2:3]
	s_andn2_b64 exec, exec, s[4:5]
	s_cbranch_execz .LBB17_69
.LBB17_32:                              ; =>This Inner Loop Header: Depth=1
	v_mov_b32_e32 v2, s19
	v_add_co_u32_e32 v6, vcc, s18, v4
	v_addc_co_u32_e32 v7, vcc, 0, v2, vcc
	v_mov_b32_e32 v2, s9
	v_add_co_u32_e32 v8, vcc, s8, v4
	global_load_dwordx2 v[6:7], v[6:7], off
	v_addc_co_u32_e32 v9, vcc, 0, v2, vcc
	global_load_dwordx2 v[8:9], v[8:9], off
	s_waitcnt vmcnt(1)
	v_fma_mixlo_f16 v2, v1, v6, 0 op_sel_hi:[0,1,0]
	s_waitcnt vmcnt(0)
	v_mul_f16_e32 v2, v8, v2
	v_cvt_f32_f16_e32 v2, v2
	v_mul_f32_e32 v2, v12, v2
	v_min_f32_e32 v2, 0x43600000, v2
	v_max_f32_e32 v15, 0xc3600000, v2
	v_and_b32_e32 v2, 0x7f800000, v15
	v_or_b32_sdwa v10, v15, s24 dst_sel:DWORD dst_unused:UNUSED_PAD src0_sel:BYTE_3 src1_sel:DWORD
	v_cmp_ne_u64_e32 vcc, s[6:7], v[2:3]
	s_and_saveexec_b64 s[0:1], vcc
	s_xor_b64 s[12:13], exec, s[0:1]
	s_cbranch_execz .LBB17_42
; %bb.33:                               ;   in Loop: Header=BB17_32 Depth=1
	v_and_b32_e32 v2, 0x7fffffff, v15
	v_cmp_gt_u64_e32 vcc, s[10:11], v[2:3]
	s_and_saveexec_b64 s[0:1], vcc
	s_xor_b64 s[14:15], exec, s[0:1]
	s_cbranch_execz .LBB17_41
; %bb.34:                               ;   in Loop: Header=BB17_32 Depth=1
	v_cmp_ne_u32_e32 vcc, 0, v15
	v_mov_b32_e32 v10, 0
	s_and_saveexec_b64 s[16:17], vcc
	s_cbranch_execz .LBB17_40
; %bb.35:                               ;   in Loop: Header=BB17_32 Depth=1
	v_bfe_u32 v10, v15, 23, 8
	v_sub_u32_e64 v11, s25, v10 clamp
	v_cmp_eq_u32_e32 vcc, 0, v10
	v_cndmask_b32_e32 v19, v11, v13, vcc
	v_and_b32_e32 v2, 0x7fffff, v15
	v_add_u32_e32 v18, 0xffffff89, v10
	v_add_u32_e32 v10, 20, v19
	v_or_b32_e32 v16, 0x800000, v2
	v_lshlrev_b64 v[10:11], v10, -1
	v_cndmask_b32_e32 v2, v16, v2, vcc
	v_not_b32_e32 v10, v10
	v_add_u32_e32 v16, 19, v19
	v_and_b32_e32 v10, v2, v10
	v_mov_b32_e32 v11, v3
	v_lshlrev_b64 v[16:17], v16, 1
	v_cmp_eq_u64_e64 s[0:1], v[10:11], v[16:17]
	v_lshrrev_b64 v[10:11], v19, v[2:3]
	v_cndmask_b32_e32 v2, v18, v14, vcc
	v_lshrrev_b32_e32 v16, 23, v10
	v_add3_u32 v16, v2, v19, v16
	v_and_b32_e32 v2, 0x100000, v10
	v_cmp_eq_u64_e32 vcc, 0, v[2:3]
	s_and_b64 vcc, vcc, s[0:1]
	v_subbrev_co_u32_e32 v2, vcc, 0, v10, vcc
	v_and_b32_e32 v2, 0xfffff, v2
	v_add_co_u32_e32 v10, vcc, v2, v10
	v_add_u32_e32 v17, -1, v16
	v_addc_co_u32_e32 v11, vcc, 0, v11, vcc
	v_cmp_ne_u32_e32 vcc, 0, v17
                                        ; implicit-def: $vgpr2
	s_and_saveexec_b64 s[0:1], vcc
	s_xor_b64 s[0:1], exec, s[0:1]
; %bb.36:                               ;   in Loop: Header=BB17_32 Depth=1
	v_and_b32_e32 v2, 0x1000000, v10
	v_cmp_eq_u64_e32 vcc, 0, v[2:3]
	v_cndmask_b32_e32 v2, v16, v17, vcc
	v_bfe_u32 v16, v10, 24, 1
	v_lshrrev_b64 v[10:11], v16, v[10:11]
; %bb.37:                               ;   in Loop: Header=BB17_32 Depth=1
	s_andn2_saveexec_b64 s[0:1], s[0:1]
; %bb.38:                               ;   in Loop: Header=BB17_32 Depth=1
	v_bfe_u32 v2, v10, 23, 1
; %bb.39:                               ;   in Loop: Header=BB17_32 Depth=1
	s_or_b64 exec, exec, s[0:1]
	v_lshrrev_b64 v[10:11], 20, v[10:11]
	v_cmp_gt_i32_e32 vcc, 16, v2
	v_and_b32_sdwa v15, v15, s26 dst_sel:DWORD dst_unused:UNUSED_PAD src0_sel:BYTE_3 src1_sel:DWORD
	v_min_i32_e32 v16, 15, v2
	v_cndmask_b32_e32 v11, 0, v11, vcc
	v_cndmask_b32_e32 v10, 7, v10, vcc
	v_cmp_eq_u32_e32 vcc, 0, v2
	v_cmp_eq_u64_e64 s[0:1], 0, v[10:11]
	v_lshl_or_b32 v2, v16, 3, v15
	v_and_or_b32 v2, v10, 7, v2
	s_and_b64 s[0:1], vcc, s[0:1]
	v_cndmask_b32_e64 v10, v2, 0, s[0:1]
.LBB17_40:                              ;   in Loop: Header=BB17_32 Depth=1
	s_or_b64 exec, exec, s[16:17]
.LBB17_41:                              ;   in Loop: Header=BB17_32 Depth=1
	s_andn2_saveexec_b64 s[0:1], s[14:15]
	s_or_b64 exec, exec, s[0:1]
.LBB17_42:                              ;   in Loop: Header=BB17_32 Depth=1
	s_andn2_saveexec_b64 s[0:1], s[12:13]
	s_or_b64 exec, exec, s[0:1]
	v_fma_mixlo_f16 v2, v1, v6, 0 op_sel:[0,1,0] op_sel_hi:[0,1,0]
	v_mul_f16_sdwa v2, v8, v2 dst_sel:DWORD dst_unused:UNUSED_PAD src0_sel:WORD_1 src1_sel:DWORD
	v_cvt_f32_f16_e32 v2, v2
	global_store_byte v5, v10, s[2:3]
	v_mul_f32_e32 v2, v12, v2
	v_min_f32_e32 v2, 0x43600000, v2
	v_max_f32_e32 v6, 0xc3600000, v2
	v_and_b32_e32 v2, 0x7f800000, v6
	v_or_b32_sdwa v8, v6, s24 dst_sel:DWORD dst_unused:UNUSED_PAD src0_sel:BYTE_3 src1_sel:DWORD
	v_cmp_ne_u64_e32 vcc, s[6:7], v[2:3]
	s_and_saveexec_b64 s[0:1], vcc
	s_xor_b64 s[12:13], exec, s[0:1]
	s_cbranch_execz .LBB17_52
; %bb.43:                               ;   in Loop: Header=BB17_32 Depth=1
	v_and_b32_e32 v2, 0x7fffffff, v6
	v_cmp_gt_u64_e32 vcc, s[10:11], v[2:3]
	s_and_saveexec_b64 s[0:1], vcc
	s_xor_b64 s[14:15], exec, s[0:1]
	s_cbranch_execz .LBB17_51
; %bb.44:                               ;   in Loop: Header=BB17_32 Depth=1
	v_cmp_ne_u32_e32 vcc, 0, v6
	v_mov_b32_e32 v8, 0
	s_and_saveexec_b64 s[16:17], vcc
	s_cbranch_execz .LBB17_50
; %bb.45:                               ;   in Loop: Header=BB17_32 Depth=1
	v_bfe_u32 v8, v6, 23, 8
	v_sub_u32_e64 v10, s25, v8 clamp
	v_cmp_eq_u32_e32 vcc, 0, v8
	v_and_b32_e32 v2, 0x7fffff, v6
	v_add_u32_e32 v15, 0xffffff89, v8
	v_cndmask_b32_e32 v8, v10, v13, vcc
	v_or_b32_e32 v11, 0x800000, v2
	v_add_u32_e32 v10, 20, v8
	v_cndmask_b32_e32 v2, v11, v2, vcc
	v_lshlrev_b64 v[10:11], v10, -1
	v_not_b32_e32 v10, v10
	v_add_u32_e32 v16, 19, v8
	v_and_b32_e32 v10, v2, v10
	v_mov_b32_e32 v11, v3
	v_lshlrev_b64 v[16:17], v16, 1
	v_cmp_eq_u64_e64 s[0:1], v[10:11], v[16:17]
	v_lshrrev_b64 v[10:11], v8, v[2:3]
	v_cndmask_b32_e32 v2, v15, v14, vcc
	v_lshrrev_b32_e32 v15, 23, v10
	v_add3_u32 v8, v2, v8, v15
	v_and_b32_e32 v2, 0x100000, v10
	v_cmp_eq_u64_e32 vcc, 0, v[2:3]
	s_and_b64 vcc, vcc, s[0:1]
	v_subbrev_co_u32_e32 v2, vcc, 0, v10, vcc
	v_and_b32_e32 v2, 0xfffff, v2
	v_add_co_u32_e32 v10, vcc, v2, v10
	v_add_u32_e32 v15, -1, v8
	v_addc_co_u32_e32 v11, vcc, 0, v11, vcc
	v_cmp_ne_u32_e32 vcc, 0, v15
                                        ; implicit-def: $vgpr2
	s_and_saveexec_b64 s[0:1], vcc
	s_xor_b64 s[0:1], exec, s[0:1]
; %bb.46:                               ;   in Loop: Header=BB17_32 Depth=1
	v_and_b32_e32 v2, 0x1000000, v10
	v_cmp_eq_u64_e32 vcc, 0, v[2:3]
	v_cndmask_b32_e32 v2, v8, v15, vcc
	v_bfe_u32 v8, v10, 24, 1
	v_lshrrev_b64 v[10:11], v8, v[10:11]
; %bb.47:                               ;   in Loop: Header=BB17_32 Depth=1
	s_andn2_saveexec_b64 s[0:1], s[0:1]
; %bb.48:                               ;   in Loop: Header=BB17_32 Depth=1
	v_bfe_u32 v2, v10, 23, 1
; %bb.49:                               ;   in Loop: Header=BB17_32 Depth=1
	s_or_b64 exec, exec, s[0:1]
	v_lshrrev_b64 v[10:11], 20, v[10:11]
	v_cmp_gt_i32_e32 vcc, 16, v2
	v_and_b32_sdwa v6, v6, s26 dst_sel:DWORD dst_unused:UNUSED_PAD src0_sel:BYTE_3 src1_sel:DWORD
	v_min_i32_e32 v8, 15, v2
	v_cndmask_b32_e32 v11, 0, v11, vcc
	v_cndmask_b32_e32 v10, 7, v10, vcc
	v_cmp_eq_u32_e32 vcc, 0, v2
	v_cmp_eq_u64_e64 s[0:1], 0, v[10:11]
	v_lshl_or_b32 v2, v8, 3, v6
	v_and_or_b32 v2, v10, 7, v2
	s_and_b64 s[0:1], vcc, s[0:1]
	v_cndmask_b32_e64 v8, v2, 0, s[0:1]
.LBB17_50:                              ;   in Loop: Header=BB17_32 Depth=1
	s_or_b64 exec, exec, s[16:17]
.LBB17_51:                              ;   in Loop: Header=BB17_32 Depth=1
	s_andn2_saveexec_b64 s[0:1], s[14:15]
	s_or_b64 exec, exec, s[0:1]
.LBB17_52:                              ;   in Loop: Header=BB17_32 Depth=1
	s_andn2_saveexec_b64 s[0:1], s[12:13]
	s_or_b64 exec, exec, s[0:1]
	v_fma_mixlo_f16 v2, v1, v7, 0 op_sel_hi:[0,1,0]
	v_mul_f16_e32 v2, v9, v2
	v_cvt_f32_f16_e32 v2, v2
	v_add_u32_e32 v6, 1, v5
	global_store_byte v6, v8, s[2:3]
	v_mul_f32_e32 v2, v12, v2
	v_min_f32_e32 v2, 0x43600000, v2
	v_max_f32_e32 v6, 0xc3600000, v2
	v_and_b32_e32 v2, 0x7f800000, v6
	v_or_b32_sdwa v8, v6, s24 dst_sel:DWORD dst_unused:UNUSED_PAD src0_sel:BYTE_3 src1_sel:DWORD
	v_cmp_ne_u64_e32 vcc, s[6:7], v[2:3]
	s_and_saveexec_b64 s[0:1], vcc
	s_xor_b64 s[12:13], exec, s[0:1]
	s_cbranch_execz .LBB17_62
; %bb.53:                               ;   in Loop: Header=BB17_32 Depth=1
	v_and_b32_e32 v2, 0x7fffffff, v6
	v_cmp_gt_u64_e32 vcc, s[10:11], v[2:3]
	s_and_saveexec_b64 s[0:1], vcc
	s_xor_b64 s[14:15], exec, s[0:1]
	s_cbranch_execz .LBB17_61
; %bb.54:                               ;   in Loop: Header=BB17_32 Depth=1
	v_cmp_ne_u32_e32 vcc, 0, v6
	v_mov_b32_e32 v8, 0
	s_and_saveexec_b64 s[16:17], vcc
	s_cbranch_execz .LBB17_60
; %bb.55:                               ;   in Loop: Header=BB17_32 Depth=1
	v_bfe_u32 v8, v6, 23, 8
	v_sub_u32_e64 v10, s25, v8 clamp
	v_cmp_eq_u32_e32 vcc, 0, v8
	v_and_b32_e32 v2, 0x7fffff, v6
	v_add_u32_e32 v15, 0xffffff89, v8
	v_cndmask_b32_e32 v8, v10, v13, vcc
	v_or_b32_e32 v11, 0x800000, v2
	v_add_u32_e32 v10, 20, v8
	v_cndmask_b32_e32 v2, v11, v2, vcc
	v_lshlrev_b64 v[10:11], v10, -1
	v_not_b32_e32 v10, v10
	v_add_u32_e32 v16, 19, v8
	v_and_b32_e32 v10, v2, v10
	v_mov_b32_e32 v11, v3
	v_lshlrev_b64 v[16:17], v16, 1
	v_cmp_eq_u64_e64 s[0:1], v[10:11], v[16:17]
	v_lshrrev_b64 v[10:11], v8, v[2:3]
	v_cndmask_b32_e32 v2, v15, v14, vcc
	v_lshrrev_b32_e32 v15, 23, v10
	v_add3_u32 v8, v2, v8, v15
	v_and_b32_e32 v2, 0x100000, v10
	v_cmp_eq_u64_e32 vcc, 0, v[2:3]
	s_and_b64 vcc, vcc, s[0:1]
	v_subbrev_co_u32_e32 v2, vcc, 0, v10, vcc
	v_and_b32_e32 v2, 0xfffff, v2
	v_add_co_u32_e32 v10, vcc, v2, v10
	v_add_u32_e32 v15, -1, v8
	v_addc_co_u32_e32 v11, vcc, 0, v11, vcc
	v_cmp_ne_u32_e32 vcc, 0, v15
                                        ; implicit-def: $vgpr2
	s_and_saveexec_b64 s[0:1], vcc
	s_xor_b64 s[0:1], exec, s[0:1]
; %bb.56:                               ;   in Loop: Header=BB17_32 Depth=1
	v_and_b32_e32 v2, 0x1000000, v10
	v_cmp_eq_u64_e32 vcc, 0, v[2:3]
	v_cndmask_b32_e32 v2, v8, v15, vcc
	v_bfe_u32 v8, v10, 24, 1
	v_lshrrev_b64 v[10:11], v8, v[10:11]
; %bb.57:                               ;   in Loop: Header=BB17_32 Depth=1
	s_andn2_saveexec_b64 s[0:1], s[0:1]
; %bb.58:                               ;   in Loop: Header=BB17_32 Depth=1
	v_bfe_u32 v2, v10, 23, 1
; %bb.59:                               ;   in Loop: Header=BB17_32 Depth=1
	s_or_b64 exec, exec, s[0:1]
	v_lshrrev_b64 v[10:11], 20, v[10:11]
	v_cmp_gt_i32_e32 vcc, 16, v2
	v_and_b32_sdwa v6, v6, s26 dst_sel:DWORD dst_unused:UNUSED_PAD src0_sel:BYTE_3 src1_sel:DWORD
	v_min_i32_e32 v8, 15, v2
	v_cndmask_b32_e32 v11, 0, v11, vcc
	v_cndmask_b32_e32 v10, 7, v10, vcc
	v_cmp_eq_u32_e32 vcc, 0, v2
	v_cmp_eq_u64_e64 s[0:1], 0, v[10:11]
	v_lshl_or_b32 v2, v8, 3, v6
	v_and_or_b32 v2, v10, 7, v2
	s_and_b64 s[0:1], vcc, s[0:1]
	v_cndmask_b32_e64 v8, v2, 0, s[0:1]
.LBB17_60:                              ;   in Loop: Header=BB17_32 Depth=1
	s_or_b64 exec, exec, s[16:17]
.LBB17_61:                              ;   in Loop: Header=BB17_32 Depth=1
	s_andn2_saveexec_b64 s[0:1], s[14:15]
	s_or_b64 exec, exec, s[0:1]
.LBB17_62:                              ;   in Loop: Header=BB17_32 Depth=1
	s_andn2_saveexec_b64 s[0:1], s[12:13]
	s_or_b64 exec, exec, s[0:1]
	v_fma_mixlo_f16 v2, v1, v7, 0 op_sel:[0,1,0] op_sel_hi:[0,1,0]
	v_mul_f16_sdwa v2, v9, v2 dst_sel:DWORD dst_unused:UNUSED_PAD src0_sel:WORD_1 src1_sel:DWORD
	v_cvt_f32_f16_e32 v2, v2
	v_add_u32_e32 v6, 2, v5
	global_store_byte v6, v8, s[2:3]
	v_mul_f32_e32 v2, v12, v2
	v_min_f32_e32 v2, 0x43600000, v2
	v_max_f32_e32 v8, 0xc3600000, v2
	v_and_b32_e32 v2, 0x7f800000, v8
	v_or_b32_sdwa v6, v8, s24 dst_sel:DWORD dst_unused:UNUSED_PAD src0_sel:BYTE_3 src1_sel:DWORD
	v_cmp_ne_u64_e32 vcc, s[6:7], v[2:3]
	s_and_saveexec_b64 s[0:1], vcc
	s_xor_b64 s[12:13], exec, s[0:1]
	s_cbranch_execz .LBB17_31
; %bb.63:                               ;   in Loop: Header=BB17_32 Depth=1
	v_and_b32_e32 v2, 0x7fffffff, v8
	v_cmp_gt_u64_e32 vcc, s[10:11], v[2:3]
	s_and_saveexec_b64 s[0:1], vcc
	s_xor_b64 s[14:15], exec, s[0:1]
	s_cbranch_execz .LBB17_30
; %bb.64:                               ;   in Loop: Header=BB17_32 Depth=1
	v_cmp_ne_u32_e32 vcc, 0, v8
	v_mov_b32_e32 v6, 0
	s_and_saveexec_b64 s[16:17], vcc
	s_cbranch_execz .LBB17_29
; %bb.65:                               ;   in Loop: Header=BB17_32 Depth=1
	v_bfe_u32 v6, v8, 23, 8
	v_sub_u32_e64 v7, s25, v6 clamp
	v_cmp_eq_u32_e32 vcc, 0, v6
	v_cndmask_b32_e32 v16, v7, v13, vcc
	v_and_b32_e32 v2, 0x7fffff, v8
	v_add_u32_e32 v15, 0xffffff89, v6
	v_add_u32_e32 v6, 20, v16
	v_or_b32_e32 v9, 0x800000, v2
	v_lshlrev_b64 v[6:7], v6, -1
	v_cndmask_b32_e32 v2, v9, v2, vcc
	v_not_b32_e32 v6, v6
	v_add_u32_e32 v9, 19, v16
	v_and_b32_e32 v6, v2, v6
	v_mov_b32_e32 v7, v3
	v_lshlrev_b64 v[10:11], v9, 1
	v_cmp_eq_u64_e64 s[0:1], v[6:7], v[10:11]
	v_lshrrev_b64 v[6:7], v16, v[2:3]
	v_cndmask_b32_e32 v2, v15, v14, vcc
	v_lshrrev_b32_e32 v9, 23, v6
	v_add3_u32 v9, v2, v16, v9
	v_and_b32_e32 v2, 0x100000, v6
	v_cmp_eq_u64_e32 vcc, 0, v[2:3]
	s_and_b64 vcc, vcc, s[0:1]
	v_subbrev_co_u32_e32 v2, vcc, 0, v6, vcc
	v_and_b32_e32 v2, 0xfffff, v2
	v_add_co_u32_e32 v6, vcc, v2, v6
	v_add_u32_e32 v10, -1, v9
	v_addc_co_u32_e32 v7, vcc, 0, v7, vcc
	v_cmp_ne_u32_e32 vcc, 0, v10
                                        ; implicit-def: $vgpr2
	s_and_saveexec_b64 s[0:1], vcc
	s_xor_b64 s[0:1], exec, s[0:1]
; %bb.66:                               ;   in Loop: Header=BB17_32 Depth=1
	v_and_b32_e32 v2, 0x1000000, v6
	v_cmp_eq_u64_e32 vcc, 0, v[2:3]
	v_cndmask_b32_e32 v2, v9, v10, vcc
	v_bfe_u32 v9, v6, 24, 1
	v_lshrrev_b64 v[6:7], v9, v[6:7]
; %bb.67:                               ;   in Loop: Header=BB17_32 Depth=1
	s_andn2_saveexec_b64 s[0:1], s[0:1]
	s_cbranch_execz .LBB17_28
; %bb.68:                               ;   in Loop: Header=BB17_32 Depth=1
	v_bfe_u32 v2, v6, 23, 1
	s_branch .LBB17_28
.LBB17_69:
	s_endpgm
	.section	.rodata,"a",@progbits
	.p2align	6, 0x0
	.amdhsa_kernel _ZN4vllm32rms_norm_static_fp8_quant_kernelIN3c104HalfENS1_15Float8_e4m3fnuzELi4EEEvPT0_PKT_iS8_PKffii
		.amdhsa_group_segment_fixed_size 68
		.amdhsa_private_segment_fixed_size 0
		.amdhsa_kernarg_size 312
		.amdhsa_user_sgpr_count 6
		.amdhsa_user_sgpr_private_segment_buffer 1
		.amdhsa_user_sgpr_dispatch_ptr 0
		.amdhsa_user_sgpr_queue_ptr 0
		.amdhsa_user_sgpr_kernarg_segment_ptr 1
		.amdhsa_user_sgpr_dispatch_id 0
		.amdhsa_user_sgpr_flat_scratch_init 0
		.amdhsa_user_sgpr_kernarg_preload_length 0
		.amdhsa_user_sgpr_kernarg_preload_offset 0
		.amdhsa_user_sgpr_private_segment_size 0
		.amdhsa_uses_dynamic_stack 0
		.amdhsa_system_sgpr_private_segment_wavefront_offset 0
		.amdhsa_system_sgpr_workgroup_id_x 1
		.amdhsa_system_sgpr_workgroup_id_y 0
		.amdhsa_system_sgpr_workgroup_id_z 0
		.amdhsa_system_sgpr_workgroup_info 0
		.amdhsa_system_vgpr_workitem_id 0
		.amdhsa_next_free_vgpr 20
		.amdhsa_next_free_sgpr 27
		.amdhsa_accum_offset 20
		.amdhsa_reserve_vcc 1
		.amdhsa_reserve_flat_scratch 0
		.amdhsa_float_round_mode_32 0
		.amdhsa_float_round_mode_16_64 0
		.amdhsa_float_denorm_mode_32 3
		.amdhsa_float_denorm_mode_16_64 3
		.amdhsa_dx10_clamp 1
		.amdhsa_ieee_mode 1
		.amdhsa_fp16_overflow 0
		.amdhsa_tg_split 0
		.amdhsa_exception_fp_ieee_invalid_op 0
		.amdhsa_exception_fp_denorm_src 0
		.amdhsa_exception_fp_ieee_div_zero 0
		.amdhsa_exception_fp_ieee_overflow 0
		.amdhsa_exception_fp_ieee_underflow 0
		.amdhsa_exception_fp_ieee_inexact 0
		.amdhsa_exception_int_div_zero 0
	.end_amdhsa_kernel
	.section	.text._ZN4vllm32rms_norm_static_fp8_quant_kernelIN3c104HalfENS1_15Float8_e4m3fnuzELi4EEEvPT0_PKT_iS8_PKffii,"axG",@progbits,_ZN4vllm32rms_norm_static_fp8_quant_kernelIN3c104HalfENS1_15Float8_e4m3fnuzELi4EEEvPT0_PKT_iS8_PKffii,comdat
.Lfunc_end17:
	.size	_ZN4vllm32rms_norm_static_fp8_quant_kernelIN3c104HalfENS1_15Float8_e4m3fnuzELi4EEEvPT0_PKT_iS8_PKffii, .Lfunc_end17-_ZN4vllm32rms_norm_static_fp8_quant_kernelIN3c104HalfENS1_15Float8_e4m3fnuzELi4EEEvPT0_PKT_iS8_PKffii
                                        ; -- End function
	.section	.AMDGPU.csdata,"",@progbits
; Kernel info:
; codeLenInByte = 3592
; NumSgprs: 31
; NumVgprs: 20
; NumAgprs: 0
; TotalNumVgprs: 20
; ScratchSize: 0
; MemoryBound: 0
; FloatMode: 240
; IeeeMode: 1
; LDSByteSize: 68 bytes/workgroup (compile time only)
; SGPRBlocks: 3
; VGPRBlocks: 2
; NumSGPRsForWavesPerEU: 31
; NumVGPRsForWavesPerEU: 20
; AccumOffset: 20
; Occupancy: 8
; WaveLimiterHint : 0
; COMPUTE_PGM_RSRC2:SCRATCH_EN: 0
; COMPUTE_PGM_RSRC2:USER_SGPR: 6
; COMPUTE_PGM_RSRC2:TRAP_HANDLER: 0
; COMPUTE_PGM_RSRC2:TGID_X_EN: 1
; COMPUTE_PGM_RSRC2:TGID_Y_EN: 0
; COMPUTE_PGM_RSRC2:TGID_Z_EN: 0
; COMPUTE_PGM_RSRC2:TIDIG_COMP_CNT: 0
; COMPUTE_PGM_RSRC3_GFX90A:ACCUM_OFFSET: 4
; COMPUTE_PGM_RSRC3_GFX90A:TG_SPLIT: 0
	.section	.text._ZN4vllm32rms_norm_static_fp8_quant_kernelIN3c104HalfENS1_15Float8_e4m3fnuzELi2EEEvPT0_PKT_iS8_PKffii,"axG",@progbits,_ZN4vllm32rms_norm_static_fp8_quant_kernelIN3c104HalfENS1_15Float8_e4m3fnuzELi2EEEvPT0_PKT_iS8_PKffii,comdat
	.protected	_ZN4vllm32rms_norm_static_fp8_quant_kernelIN3c104HalfENS1_15Float8_e4m3fnuzELi2EEEvPT0_PKT_iS8_PKffii ; -- Begin function _ZN4vllm32rms_norm_static_fp8_quant_kernelIN3c104HalfENS1_15Float8_e4m3fnuzELi2EEEvPT0_PKT_iS8_PKffii
	.globl	_ZN4vllm32rms_norm_static_fp8_quant_kernelIN3c104HalfENS1_15Float8_e4m3fnuzELi2EEEvPT0_PKT_iS8_PKffii
	.p2align	8
	.type	_ZN4vllm32rms_norm_static_fp8_quant_kernelIN3c104HalfENS1_15Float8_e4m3fnuzELi2EEEvPT0_PKT_iS8_PKffii,@function
_ZN4vllm32rms_norm_static_fp8_quant_kernelIN3c104HalfENS1_15Float8_e4m3fnuzELi2EEEvPT0_PKT_iS8_PKffii: ; @_ZN4vllm32rms_norm_static_fp8_quant_kernelIN3c104HalfENS1_15Float8_e4m3fnuzELi2EEEvPT0_PKT_iS8_PKffii
; %bb.0:
	s_load_dword s2, s[4:5], 0x10
	s_load_dwordx2 s[0:1], s[4:5], 0x8
	s_load_dword s7, s[4:5], 0x30
	s_load_dword s12, s[4:5], 0x44
	s_mov_b32 s11, 0
	s_waitcnt lgkmcnt(0)
	s_mul_i32 s10, s6, s2
	s_lshl_b64 s[8:9], s[10:11], 1
	s_add_u32 s2, s0, s8
	s_addc_u32 s3, s1, s9
	s_and_b32 s20, s12, 0xffff
	s_and_b32 s10, s2, 3
	s_cmp_lg_u64 s[10:11], 0
	s_cselect_b64 s[10:11], -1, 0
	s_bitcmp1_b32 s7, 0
	s_cselect_b64 s[12:13], -1, 0
	s_or_b64 s[10:11], s[10:11], s[12:13]
	s_and_b64 vcc, exec, s[10:11]
	s_cbranch_vccz .LBB18_13
; %bb.1:
	s_sub_i32 s10, 0, s2
	s_bfe_u32 s10, s10, 0x10001
	s_min_i32 s10, s10, s7
	v_cmp_gt_i32_e32 vcc, s10, v0
	v_mov_b32_e32 v1, 0
	s_and_saveexec_b64 s[12:13], vcc
	s_cbranch_execz .LBB18_4
; %bb.2:
	s_lshl_b32 s11, s20, 1
	s_mov_b32 s16, 0
	v_mov_b32_e32 v2, 0
	s_mov_b64 s[14:15], s[2:3]
	v_mov_b32_e32 v1, 0
.LBB18_3:                               ; =>This Inner Loop Header: Depth=1
	global_load_ushort v3, v2, s[14:15]
	s_add_i32 s16, s16, s20
	s_add_u32 s14, s14, s11
	s_addc_u32 s15, s15, 0
	s_cmp_ge_i32 s16, s10
	s_waitcnt vmcnt(0)
	v_fma_mix_f32 v1, v3, v3, v1 op_sel_hi:[1,1,0]
	s_cbranch_scc0 .LBB18_3
.LBB18_4:
	s_or_b64 exec, exec, s[12:13]
	s_sub_i32 s16, s7, s10
	s_lshr_b32 s12, s16, 31
	s_add_i32 s12, s16, s12
	s_ashr_i32 s17, s12, 1
	s_ashr_i32 s11, s10, 31
	v_cmp_gt_i32_e32 vcc, s17, v0
	s_and_saveexec_b64 s[12:13], vcc
	s_cbranch_execz .LBB18_8
; %bb.5:
	s_lshl_b64 s[14:15], s[10:11], 1
	s_add_u32 s18, s0, s8
	s_addc_u32 s21, s1, s9
	s_add_u32 s14, s18, s14
	v_lshlrev_b32_e32 v2, 2, v0
	s_addc_u32 s15, s21, s15
	v_mov_b32_e32 v3, s15
	v_add_co_u32_e32 v2, vcc, s14, v2
	v_addc_co_u32_e32 v3, vcc, 0, v3, vcc
	s_mov_b32 s19, 0
	v_add_co_u32_e32 v2, vcc, 2, v2
	v_addc_co_u32_e32 v3, vcc, 0, v3, vcc
	s_lshl_b32 s18, s20, 2
	s_mov_b64 s[14:15], 0
	v_mov_b32_e32 v4, s19
	v_mov_b32_e32 v5, v0
.LBB18_6:                               ; =>This Inner Loop Header: Depth=1
	global_load_dword v6, v[2:3], off offset:-2
	v_add_co_u32_e32 v2, vcc, s18, v2
	v_add_u32_e32 v5, s20, v5
	v_addc_co_u32_e32 v3, vcc, v3, v4, vcc
	v_cmp_le_i32_e32 vcc, s17, v5
	s_or_b64 s[14:15], vcc, s[14:15]
	s_waitcnt vmcnt(0)
	v_fma_mix_f32 v1, v6, v6, v1 op_sel_hi:[1,1,0]
	v_fma_mix_f32 v1, v6, v6, v1 op_sel:[1,1,0] op_sel_hi:[1,1,0]
	s_andn2_b64 exec, exec, s[14:15]
	s_cbranch_execnz .LBB18_6
; %bb.7:
	s_or_b64 exec, exec, s[14:15]
.LBB18_8:
	s_or_b64 exec, exec, s[12:13]
	v_lshl_add_u32 v2, s17, 1, v0
	v_cmp_gt_i32_e32 vcc, s16, v2
	s_and_saveexec_b64 s[12:13], vcc
	s_cbranch_execz .LBB18_12
; %bb.9:
	s_lshl_b64 s[10:11], s[10:11], 1
	s_add_u32 s14, s0, s8
	s_addc_u32 s15, s1, s9
	v_ashrrev_i32_e32 v3, 31, v2
	s_add_u32 s10, s14, s10
	v_lshlrev_b64 v[4:5], 1, v[2:3]
	s_addc_u32 s11, s15, s11
	v_mov_b32_e32 v3, s11
	v_add_co_u32_e32 v4, vcc, s10, v4
	s_mov_b32 s15, 0
	v_addc_co_u32_e32 v5, vcc, v3, v5, vcc
	s_lshl_b32 s14, s20, 1
	s_mov_b64 s[10:11], 0
	v_mov_b32_e32 v3, s15
.LBB18_10:                              ; =>This Inner Loop Header: Depth=1
	global_load_ushort v6, v[4:5], off
	v_add_co_u32_e32 v4, vcc, s14, v4
	v_add_u32_e32 v2, s20, v2
	v_addc_co_u32_e32 v5, vcc, v5, v3, vcc
	v_cmp_le_i32_e32 vcc, s16, v2
	s_or_b64 s[10:11], vcc, s[10:11]
	s_waitcnt vmcnt(0)
	v_fma_mix_f32 v1, v6, v6, v1 op_sel_hi:[1,1,0]
	s_andn2_b64 exec, exec, s[10:11]
	s_cbranch_execnz .LBB18_10
; %bb.11:
	s_or_b64 exec, exec, s[10:11]
.LBB18_12:
	s_or_b64 exec, exec, s[12:13]
	s_branch .LBB18_19
.LBB18_13:
                                        ; implicit-def: $vgpr1
	s_cbranch_execz .LBB18_19
; %bb.14:
	s_ashr_i32 s12, s7, 1
	v_cmp_gt_i32_e32 vcc, s12, v0
	v_mov_b32_e32 v1, 0
	s_and_saveexec_b64 s[10:11], vcc
	s_cbranch_execz .LBB18_18
; %bb.15:
	s_add_u32 s0, s0, s8
	v_lshlrev_b32_e32 v1, 2, v0
	s_addc_u32 s1, s1, s9
	v_mov_b32_e32 v2, s1
	v_add_co_u32_e32 v1, vcc, s0, v1
	v_addc_co_u32_e32 v3, vcc, 0, v2, vcc
	s_mov_b32 s13, 0
	v_add_co_u32_e32 v2, vcc, 2, v1
	v_addc_co_u32_e32 v3, vcc, 0, v3, vcc
	s_lshl_b32 s8, s20, 2
	s_mov_b64 s[0:1], 0
	v_mov_b32_e32 v1, 0
	v_mov_b32_e32 v4, s13
	v_mov_b32_e32 v5, v0
.LBB18_16:                              ; =>This Inner Loop Header: Depth=1
	global_load_dword v6, v[2:3], off offset:-2
	v_add_co_u32_e32 v2, vcc, s8, v2
	v_add_u32_e32 v5, s20, v5
	v_addc_co_u32_e32 v3, vcc, v3, v4, vcc
	v_cmp_le_i32_e32 vcc, s12, v5
	s_or_b64 s[0:1], vcc, s[0:1]
	s_waitcnt vmcnt(0)
	v_fma_mix_f32 v1, v6, v6, v1 op_sel_hi:[1,1,0]
	v_fma_mix_f32 v1, v6, v6, v1 op_sel:[1,1,0] op_sel_hi:[1,1,0]
	s_andn2_b64 exec, exec, s[0:1]
	s_cbranch_execnz .LBB18_16
; %bb.17:
	s_or_b64 exec, exec, s[0:1]
.LBB18_18:
	s_or_b64 exec, exec, s[10:11]
.LBB18_19:
	v_mbcnt_lo_u32_b32 v2, -1, 0
	v_mbcnt_hi_u32_b32 v2, -1, v2
	v_and_b32_e32 v3, 63, v2
	v_cmp_ne_u32_e32 vcc, 63, v3
	v_addc_co_u32_e32 v4, vcc, 0, v2, vcc
	v_lshlrev_b32_e32 v4, 2, v4
	ds_bpermute_b32 v4, v4, v1
	v_and_b32_e32 v5, 0x3c0, v0
	v_sub_u32_e64 v5, s20, v5 clamp
	v_add_u32_e32 v6, 1, v2
	v_cmp_lt_u32_e32 vcc, v6, v5
	s_waitcnt lgkmcnt(0)
	v_add_f32_e32 v4, v1, v4
	v_cndmask_b32_e32 v1, v1, v4, vcc
	v_cmp_gt_u32_e32 vcc, 62, v3
	v_cndmask_b32_e64 v4, 0, 1, vcc
	v_lshlrev_b32_e32 v4, 1, v4
	v_add_lshl_u32 v4, v4, v2, 2
	ds_bpermute_b32 v4, v4, v1
	v_add_u32_e32 v6, 2, v2
	v_cmp_lt_u32_e32 vcc, v6, v5
	v_add_u32_e32 v6, 4, v2
	s_waitcnt lgkmcnt(0)
	v_add_f32_e32 v4, v1, v4
	v_cndmask_b32_e32 v1, v1, v4, vcc
	v_cmp_gt_u32_e32 vcc, 60, v3
	v_cndmask_b32_e64 v4, 0, 1, vcc
	v_lshlrev_b32_e32 v4, 2, v4
	v_add_lshl_u32 v4, v4, v2, 2
	ds_bpermute_b32 v4, v4, v1
	v_cmp_lt_u32_e32 vcc, v6, v5
	v_add_u32_e32 v6, 8, v2
	s_waitcnt lgkmcnt(0)
	v_add_f32_e32 v4, v1, v4
	v_cndmask_b32_e32 v1, v1, v4, vcc
	v_cmp_gt_u32_e32 vcc, 56, v3
	v_cndmask_b32_e64 v4, 0, 1, vcc
	v_lshlrev_b32_e32 v4, 3, v4
	v_add_lshl_u32 v4, v4, v2, 2
	ds_bpermute_b32 v4, v4, v1
	;; [unrolled: 10-line block ×3, first 2 shown]
	v_cmp_lt_u32_e32 vcc, v6, v5
	s_waitcnt lgkmcnt(0)
	v_add_f32_e32 v4, v1, v4
	v_cndmask_b32_e32 v1, v1, v4, vcc
	v_cmp_gt_u32_e32 vcc, 32, v3
	v_cndmask_b32_e64 v3, 0, 1, vcc
	v_lshlrev_b32_e32 v3, 5, v3
	v_add_lshl_u32 v3, v3, v2, 2
	ds_bpermute_b32 v3, v3, v1
	v_add_u32_e32 v4, 32, v2
	v_cmp_lt_u32_e32 vcc, v4, v5
	s_waitcnt lgkmcnt(0)
	v_add_f32_e32 v3, v1, v3
	v_cndmask_b32_e32 v1, v1, v3, vcc
	v_cmp_eq_u32_e32 vcc, 0, v2
	s_and_saveexec_b64 s[0:1], vcc
	s_cbranch_execz .LBB18_21
; %bb.20:
	v_lshrrev_b32_e32 v3, 4, v0
	v_and_b32_e32 v3, 60, v3
	ds_write_b32 v3, v1
.LBB18_21:
	s_or_b64 exec, exec, s[0:1]
	v_cmp_gt_u32_e32 vcc, 16, v0
	s_waitcnt lgkmcnt(0)
	s_barrier
	s_and_saveexec_b64 s[8:9], vcc
	s_cbranch_execz .LBB18_23
; %bb.22:
	v_lshlrev_b32_e32 v1, 2, v2
	ds_read_b32 v1, v1
	v_and_b32_e32 v3, 15, v2
	v_cmp_ne_u32_e32 vcc, 15, v3
	v_addc_co_u32_e32 v4, vcc, 0, v2, vcc
	v_lshlrev_b32_e32 v4, 2, v4
	s_waitcnt lgkmcnt(0)
	ds_bpermute_b32 v4, v4, v1
	s_add_i32 s0, s20, 63
	s_lshr_b32 s10, s0, 6
	v_add_u32_e32 v5, 1, v3
	v_cmp_gt_u32_e64 s[0:1], 14, v3
	v_cmp_gt_u32_e32 vcc, s10, v5
	v_cndmask_b32_e64 v5, 0, 1, s[0:1]
	s_waitcnt lgkmcnt(0)
	v_add_f32_e32 v4, v1, v4
	v_lshlrev_b32_e32 v5, 1, v5
	v_cndmask_b32_e32 v4, v1, v4, vcc
	v_add_lshl_u32 v5, v5, v2, 2
	ds_bpermute_b32 v5, v5, v4
	v_add_u32_e32 v6, 2, v3
	v_cmp_gt_u32_e64 s[0:1], s10, v6
	v_add_u32_e32 v6, 4, v3
	s_waitcnt lgkmcnt(0)
	v_add_f32_e32 v5, v4, v5
	v_cndmask_b32_e64 v4, v4, v5, s[0:1]
	v_cmp_gt_u32_e64 s[0:1], 12, v3
	v_cndmask_b32_e64 v5, 0, 1, s[0:1]
	v_lshlrev_b32_e32 v5, 2, v5
	v_add_lshl_u32 v5, v5, v2, 2
	ds_bpermute_b32 v5, v5, v4
	v_cmp_gt_u32_e64 s[0:1], s10, v6
	s_waitcnt lgkmcnt(0)
	v_add_f32_e32 v5, v4, v5
	v_cndmask_b32_e64 v4, v4, v5, s[0:1]
	v_cmp_gt_u32_e64 s[0:1], 8, v3
	v_cndmask_b32_e64 v5, 0, 1, s[0:1]
	v_lshlrev_b32_e32 v5, 3, v5
	v_add_lshl_u32 v2, v5, v2, 2
	ds_bpermute_b32 v2, v2, v4
	v_add_u32_e32 v3, 8, v3
	v_cmp_gt_u32_e64 s[0:1], s10, v3
	s_waitcnt lgkmcnt(0)
	v_add_f32_e32 v2, v4, v2
	v_cndmask_b32_e64 v2, v4, v2, s[0:1]
	v_cndmask_b32_e32 v1, v1, v2, vcc
.LBB18_23:
	s_or_b64 exec, exec, s[8:9]
	v_cmp_eq_u32_e32 vcc, 0, v0
	s_and_saveexec_b64 s[0:1], vcc
	s_cbranch_execz .LBB18_25
; %bb.24:
	v_cvt_f32_i32_e32 v2, s7
	s_load_dword s10, s[4:5], 0x28
	v_div_scale_f32 v3, s[8:9], v2, v2, v1
	v_rcp_f32_e32 v4, v3
	v_div_scale_f32 v5, vcc, v1, v2, v1
	s_mov_b32 s8, 0x800000
	v_fma_f32 v6, -v3, v4, 1.0
	v_fmac_f32_e32 v4, v6, v4
	v_mul_f32_e32 v6, v5, v4
	v_fma_f32 v7, -v3, v6, v5
	v_fmac_f32_e32 v6, v7, v4
	v_fma_f32 v3, -v3, v6, v5
	v_div_fmas_f32 v3, v3, v4, v6
	v_div_fixup_f32 v1, v3, v2, v1
	s_waitcnt lgkmcnt(0)
	v_add_f32_e32 v1, s10, v1
	v_mul_f32_e32 v2, 0x4b800000, v1
	v_cmp_gt_f32_e32 vcc, s8, v1
	v_cndmask_b32_e32 v1, v1, v2, vcc
	v_rsq_f32_e32 v1, v1
	v_mul_f32_e32 v2, 0x45800000, v1
	v_cndmask_b32_e32 v1, v1, v2, vcc
	v_mov_b32_e32 v2, 0
	ds_write_b32 v2, v1 offset:64
.LBB18_25:
	s_or_b64 exec, exec, s[0:1]
	s_lshr_b32 s0, s7, 31
	s_add_i32 s0, s7, s0
	s_ashr_i32 s21, s0, 1
	v_cmp_gt_i32_e32 vcc, s21, v0
	s_waitcnt lgkmcnt(0)
	s_barrier
	s_and_saveexec_b64 s[0:1], vcc
	s_cbranch_execz .LBB18_48
; %bb.26:
	s_load_dwordx4 s[8:11], s[4:5], 0x18
	s_load_dwordx2 s[12:13], s[4:5], 0x0
	v_mov_b32_e32 v3, 0
	ds_read_b32 v1, v3 offset:64
	s_mul_i32 s6, s6, s7
	s_waitcnt lgkmcnt(0)
	s_load_dword s4, s[10:11], 0x0
	v_lshl_or_b32 v2, v0, 2, 2
	s_lshl_b32 s22, s20, 1
	v_lshl_add_u32 v8, v0, 1, s6
	s_lshl_b32 s23, s20, 2
	s_waitcnt lgkmcnt(0)
	v_div_scale_f32 v4, s[0:1], s4, s4, 1.0
	v_rcp_f32_e32 v5, v4
	v_div_scale_f32 v6, vcc, 1.0, s4, 1.0
	s_mov_b32 s24, 0
	v_fma_f32 v7, -v4, v5, 1.0
	v_fmac_f32_e32 v5, v7, v5
	v_mul_f32_e32 v7, v6, v5
	v_fma_f32 v9, -v4, v7, v6
	v_fmac_f32_e32 v7, v9, v5
	v_fma_f32 v4, -v4, v7, v6
	v_div_fmas_f32 v4, v4, v5, v7
	v_div_fixup_f32 v9, v4, s4, 1.0
	s_mov_b64 s[4:5], 0
	v_mov_b32_e32 v10, s3
	v_mov_b32_e32 v11, s9
	s_movk_i32 s3, 0x7f
	s_mov_b64 s[6:7], 0x7f800000
	s_mov_b64 s[10:11], 0x43700001
	s_movk_i32 s9, 0x78
	s_movk_i32 s25, 0x80
	v_mov_b32_e32 v12, 0x77
	v_mov_b32_e32 v13, 0xffffff8a
	v_pk_mov_b32 v[4:5], v[2:3], v[2:3] op_sel:[0,1]
	s_branch .LBB18_31
.LBB18_27:                              ;   in Loop: Header=BB18_31 Depth=1
	s_or_b64 exec, exec, s[0:1]
	v_lshrrev_b64 v[6:7], 20, v[6:7]
	v_cmp_gt_i32_e32 vcc, 16, v2
	v_and_b32_sdwa v14, v14, s25 dst_sel:DWORD dst_unused:UNUSED_PAD src0_sel:BYTE_3 src1_sel:DWORD
	v_min_i32_e32 v15, 15, v2
	v_cndmask_b32_e32 v7, 0, v7, vcc
	v_cndmask_b32_e32 v6, 7, v6, vcc
	v_cmp_eq_u32_e32 vcc, 0, v2
	v_cmp_eq_u64_e64 s[0:1], 0, v[6:7]
	v_lshl_or_b32 v2, v15, 3, v14
	v_and_or_b32 v2, v6, 7, v2
	s_and_b64 s[0:1], vcc, s[0:1]
	v_cndmask_b32_e64 v6, v2, 0, s[0:1]
.LBB18_28:                              ;   in Loop: Header=BB18_31 Depth=1
	s_or_b64 exec, exec, s[18:19]
.LBB18_29:                              ;   in Loop: Header=BB18_31 Depth=1
	s_andn2_saveexec_b64 s[0:1], s[16:17]
	s_or_b64 exec, exec, s[0:1]
.LBB18_30:                              ;   in Loop: Header=BB18_31 Depth=1
	s_andn2_saveexec_b64 s[0:1], s[14:15]
	s_or_b64 exec, exec, s[0:1]
	v_add_u32_e32 v0, s20, v0
	v_add_u32_e32 v2, 1, v8
	v_cmp_le_i32_e32 vcc, s21, v0
	global_store_byte v2, v6, s[12:13]
	v_mov_b32_e32 v2, s24
	s_or_b64 s[4:5], vcc, s[4:5]
	v_add_co_u32_e32 v4, vcc, s23, v4
	v_add_u32_e32 v8, s22, v8
	v_addc_co_u32_e32 v5, vcc, v5, v2, vcc
	s_andn2_b64 exec, exec, s[4:5]
	s_cbranch_execz .LBB18_48
.LBB18_31:                              ; =>This Inner Loop Header: Depth=1
	v_add_co_u32_e32 v6, vcc, s2, v4
	v_addc_co_u32_e32 v7, vcc, v10, v5, vcc
	global_load_dword v14, v[6:7], off offset:-2
	v_add_co_u32_e32 v6, vcc, s8, v4
	v_addc_co_u32_e32 v7, vcc, v11, v5, vcc
	global_load_dword v15, v[6:7], off offset:-2
	s_waitcnt vmcnt(1)
	v_fma_mixlo_f16 v2, v1, v14, 0 op_sel_hi:[0,1,0]
	s_waitcnt vmcnt(0)
	v_mul_f16_e32 v2, v15, v2
	v_cvt_f32_f16_e32 v2, v2
	v_mul_f32_e32 v2, v9, v2
	v_min_f32_e32 v2, 0x43600000, v2
	v_max_f32_e32 v16, 0xc3600000, v2
	v_and_b32_e32 v2, 0x7f800000, v16
	v_or_b32_sdwa v6, v16, s3 dst_sel:DWORD dst_unused:UNUSED_PAD src0_sel:BYTE_3 src1_sel:DWORD
	v_cmp_ne_u64_e32 vcc, s[6:7], v[2:3]
	s_and_saveexec_b64 s[0:1], vcc
	s_xor_b64 s[14:15], exec, s[0:1]
	s_cbranch_execz .LBB18_41
; %bb.32:                               ;   in Loop: Header=BB18_31 Depth=1
	v_and_b32_e32 v2, 0x7fffffff, v16
	v_cmp_gt_u64_e32 vcc, s[10:11], v[2:3]
	s_and_saveexec_b64 s[0:1], vcc
	s_xor_b64 s[16:17], exec, s[0:1]
	s_cbranch_execz .LBB18_40
; %bb.33:                               ;   in Loop: Header=BB18_31 Depth=1
	v_cmp_ne_u32_e32 vcc, 0, v16
	v_mov_b32_e32 v6, 0
	s_and_saveexec_b64 s[18:19], vcc
	s_cbranch_execz .LBB18_39
; %bb.34:                               ;   in Loop: Header=BB18_31 Depth=1
	v_bfe_u32 v6, v16, 23, 8
	v_sub_u32_e64 v7, s9, v6 clamp
	v_cmp_eq_u32_e32 vcc, 0, v6
	v_cndmask_b32_e32 v21, v7, v12, vcc
	v_and_b32_e32 v2, 0x7fffff, v16
	v_add_u32_e32 v20, 0xffffff89, v6
	v_add_u32_e32 v6, 20, v21
	v_or_b32_e32 v17, 0x800000, v2
	v_lshlrev_b64 v[6:7], v6, -1
	v_cndmask_b32_e32 v2, v17, v2, vcc
	v_not_b32_e32 v6, v6
	v_add_u32_e32 v17, 19, v21
	v_and_b32_e32 v6, v2, v6
	v_mov_b32_e32 v7, v3
	v_lshlrev_b64 v[18:19], v17, 1
	v_cmp_eq_u64_e64 s[0:1], v[6:7], v[18:19]
	v_lshrrev_b64 v[6:7], v21, v[2:3]
	v_cndmask_b32_e32 v2, v20, v13, vcc
	v_lshrrev_b32_e32 v17, 23, v6
	v_add3_u32 v17, v2, v21, v17
	v_and_b32_e32 v2, 0x100000, v6
	v_cmp_eq_u64_e32 vcc, 0, v[2:3]
	s_and_b64 vcc, vcc, s[0:1]
	v_subbrev_co_u32_e32 v2, vcc, 0, v6, vcc
	v_and_b32_e32 v2, 0xfffff, v2
	v_add_co_u32_e32 v6, vcc, v2, v6
	v_add_u32_e32 v18, -1, v17
	v_addc_co_u32_e32 v7, vcc, 0, v7, vcc
	v_cmp_ne_u32_e32 vcc, 0, v18
                                        ; implicit-def: $vgpr2
	s_and_saveexec_b64 s[0:1], vcc
	s_xor_b64 s[0:1], exec, s[0:1]
; %bb.35:                               ;   in Loop: Header=BB18_31 Depth=1
	v_and_b32_e32 v2, 0x1000000, v6
	v_cmp_eq_u64_e32 vcc, 0, v[2:3]
	v_cndmask_b32_e32 v2, v17, v18, vcc
	v_bfe_u32 v17, v6, 24, 1
	v_lshrrev_b64 v[6:7], v17, v[6:7]
; %bb.36:                               ;   in Loop: Header=BB18_31 Depth=1
	s_andn2_saveexec_b64 s[0:1], s[0:1]
; %bb.37:                               ;   in Loop: Header=BB18_31 Depth=1
	v_bfe_u32 v2, v6, 23, 1
; %bb.38:                               ;   in Loop: Header=BB18_31 Depth=1
	s_or_b64 exec, exec, s[0:1]
	v_lshrrev_b64 v[6:7], 20, v[6:7]
	v_cmp_gt_i32_e32 vcc, 16, v2
	v_and_b32_sdwa v16, v16, s25 dst_sel:DWORD dst_unused:UNUSED_PAD src0_sel:BYTE_3 src1_sel:DWORD
	v_min_i32_e32 v17, 15, v2
	v_cndmask_b32_e32 v7, 0, v7, vcc
	v_cndmask_b32_e32 v6, 7, v6, vcc
	v_cmp_eq_u32_e32 vcc, 0, v2
	v_cmp_eq_u64_e64 s[0:1], 0, v[6:7]
	v_lshl_or_b32 v2, v17, 3, v16
	v_and_or_b32 v2, v6, 7, v2
	s_and_b64 s[0:1], vcc, s[0:1]
	v_cndmask_b32_e64 v6, v2, 0, s[0:1]
.LBB18_39:                              ;   in Loop: Header=BB18_31 Depth=1
	s_or_b64 exec, exec, s[18:19]
.LBB18_40:                              ;   in Loop: Header=BB18_31 Depth=1
	s_andn2_saveexec_b64 s[0:1], s[16:17]
	s_or_b64 exec, exec, s[0:1]
.LBB18_41:                              ;   in Loop: Header=BB18_31 Depth=1
	s_andn2_saveexec_b64 s[0:1], s[14:15]
	s_or_b64 exec, exec, s[0:1]
	v_fma_mixlo_f16 v2, v1, v14, 0 op_sel:[0,1,0] op_sel_hi:[0,1,0]
	v_mul_f16_sdwa v2, v15, v2 dst_sel:DWORD dst_unused:UNUSED_PAD src0_sel:WORD_1 src1_sel:DWORD
	v_cvt_f32_f16_e32 v2, v2
	global_store_byte v8, v6, s[12:13]
	v_mul_f32_e32 v2, v9, v2
	v_min_f32_e32 v2, 0x43600000, v2
	v_max_f32_e32 v14, 0xc3600000, v2
	v_and_b32_e32 v2, 0x7f800000, v14
	v_or_b32_sdwa v6, v14, s3 dst_sel:DWORD dst_unused:UNUSED_PAD src0_sel:BYTE_3 src1_sel:DWORD
	v_cmp_ne_u64_e32 vcc, s[6:7], v[2:3]
	s_and_saveexec_b64 s[0:1], vcc
	s_xor_b64 s[14:15], exec, s[0:1]
	s_cbranch_execz .LBB18_30
; %bb.42:                               ;   in Loop: Header=BB18_31 Depth=1
	v_and_b32_e32 v2, 0x7fffffff, v14
	v_cmp_gt_u64_e32 vcc, s[10:11], v[2:3]
	s_and_saveexec_b64 s[0:1], vcc
	s_xor_b64 s[16:17], exec, s[0:1]
	s_cbranch_execz .LBB18_29
; %bb.43:                               ;   in Loop: Header=BB18_31 Depth=1
	v_cmp_ne_u32_e32 vcc, 0, v14
	v_mov_b32_e32 v6, 0
	s_and_saveexec_b64 s[18:19], vcc
	s_cbranch_execz .LBB18_28
; %bb.44:                               ;   in Loop: Header=BB18_31 Depth=1
	v_bfe_u32 v6, v14, 23, 8
	v_sub_u32_e64 v7, s9, v6 clamp
	v_cmp_eq_u32_e32 vcc, 0, v6
	v_cndmask_b32_e32 v19, v7, v12, vcc
	v_and_b32_e32 v2, 0x7fffff, v14
	v_add_u32_e32 v18, 0xffffff89, v6
	v_add_u32_e32 v6, 20, v19
	v_or_b32_e32 v15, 0x800000, v2
	v_lshlrev_b64 v[6:7], v6, -1
	v_cndmask_b32_e32 v2, v15, v2, vcc
	v_not_b32_e32 v6, v6
	v_add_u32_e32 v15, 19, v19
	v_and_b32_e32 v6, v2, v6
	v_mov_b32_e32 v7, v3
	v_lshlrev_b64 v[16:17], v15, 1
	v_cmp_eq_u64_e64 s[0:1], v[6:7], v[16:17]
	v_lshrrev_b64 v[6:7], v19, v[2:3]
	v_cndmask_b32_e32 v2, v18, v13, vcc
	v_lshrrev_b32_e32 v15, 23, v6
	v_add3_u32 v15, v2, v19, v15
	v_and_b32_e32 v2, 0x100000, v6
	v_cmp_eq_u64_e32 vcc, 0, v[2:3]
	s_and_b64 vcc, vcc, s[0:1]
	v_subbrev_co_u32_e32 v2, vcc, 0, v6, vcc
	v_and_b32_e32 v2, 0xfffff, v2
	v_add_co_u32_e32 v6, vcc, v2, v6
	v_add_u32_e32 v16, -1, v15
	v_addc_co_u32_e32 v7, vcc, 0, v7, vcc
	v_cmp_ne_u32_e32 vcc, 0, v16
                                        ; implicit-def: $vgpr2
	s_and_saveexec_b64 s[0:1], vcc
	s_xor_b64 s[0:1], exec, s[0:1]
; %bb.45:                               ;   in Loop: Header=BB18_31 Depth=1
	v_and_b32_e32 v2, 0x1000000, v6
	v_cmp_eq_u64_e32 vcc, 0, v[2:3]
	v_cndmask_b32_e32 v2, v15, v16, vcc
	v_bfe_u32 v15, v6, 24, 1
	v_lshrrev_b64 v[6:7], v15, v[6:7]
; %bb.46:                               ;   in Loop: Header=BB18_31 Depth=1
	s_andn2_saveexec_b64 s[0:1], s[0:1]
	s_cbranch_execz .LBB18_27
; %bb.47:                               ;   in Loop: Header=BB18_31 Depth=1
	v_bfe_u32 v2, v6, 23, 1
	s_branch .LBB18_27
.LBB18_48:
	s_endpgm
	.section	.rodata,"a",@progbits
	.p2align	6, 0x0
	.amdhsa_kernel _ZN4vllm32rms_norm_static_fp8_quant_kernelIN3c104HalfENS1_15Float8_e4m3fnuzELi2EEEvPT0_PKT_iS8_PKffii
		.amdhsa_group_segment_fixed_size 68
		.amdhsa_private_segment_fixed_size 0
		.amdhsa_kernarg_size 312
		.amdhsa_user_sgpr_count 6
		.amdhsa_user_sgpr_private_segment_buffer 1
		.amdhsa_user_sgpr_dispatch_ptr 0
		.amdhsa_user_sgpr_queue_ptr 0
		.amdhsa_user_sgpr_kernarg_segment_ptr 1
		.amdhsa_user_sgpr_dispatch_id 0
		.amdhsa_user_sgpr_flat_scratch_init 0
		.amdhsa_user_sgpr_kernarg_preload_length 0
		.amdhsa_user_sgpr_kernarg_preload_offset 0
		.amdhsa_user_sgpr_private_segment_size 0
		.amdhsa_uses_dynamic_stack 0
		.amdhsa_system_sgpr_private_segment_wavefront_offset 0
		.amdhsa_system_sgpr_workgroup_id_x 1
		.amdhsa_system_sgpr_workgroup_id_y 0
		.amdhsa_system_sgpr_workgroup_id_z 0
		.amdhsa_system_sgpr_workgroup_info 0
		.amdhsa_system_vgpr_workitem_id 0
		.amdhsa_next_free_vgpr 22
		.amdhsa_next_free_sgpr 26
		.amdhsa_accum_offset 24
		.amdhsa_reserve_vcc 1
		.amdhsa_reserve_flat_scratch 0
		.amdhsa_float_round_mode_32 0
		.amdhsa_float_round_mode_16_64 0
		.amdhsa_float_denorm_mode_32 3
		.amdhsa_float_denorm_mode_16_64 3
		.amdhsa_dx10_clamp 1
		.amdhsa_ieee_mode 1
		.amdhsa_fp16_overflow 0
		.amdhsa_tg_split 0
		.amdhsa_exception_fp_ieee_invalid_op 0
		.amdhsa_exception_fp_denorm_src 0
		.amdhsa_exception_fp_ieee_div_zero 0
		.amdhsa_exception_fp_ieee_overflow 0
		.amdhsa_exception_fp_ieee_underflow 0
		.amdhsa_exception_fp_ieee_inexact 0
		.amdhsa_exception_int_div_zero 0
	.end_amdhsa_kernel
	.section	.text._ZN4vllm32rms_norm_static_fp8_quant_kernelIN3c104HalfENS1_15Float8_e4m3fnuzELi2EEEvPT0_PKT_iS8_PKffii,"axG",@progbits,_ZN4vllm32rms_norm_static_fp8_quant_kernelIN3c104HalfENS1_15Float8_e4m3fnuzELi2EEEvPT0_PKT_iS8_PKffii,comdat
.Lfunc_end18:
	.size	_ZN4vllm32rms_norm_static_fp8_quant_kernelIN3c104HalfENS1_15Float8_e4m3fnuzELi2EEEvPT0_PKT_iS8_PKffii, .Lfunc_end18-_ZN4vllm32rms_norm_static_fp8_quant_kernelIN3c104HalfENS1_15Float8_e4m3fnuzELi2EEEvPT0_PKT_iS8_PKffii
                                        ; -- End function
	.section	.AMDGPU.csdata,"",@progbits
; Kernel info:
; codeLenInByte = 2652
; NumSgprs: 30
; NumVgprs: 22
; NumAgprs: 0
; TotalNumVgprs: 22
; ScratchSize: 0
; MemoryBound: 0
; FloatMode: 240
; IeeeMode: 1
; LDSByteSize: 68 bytes/workgroup (compile time only)
; SGPRBlocks: 3
; VGPRBlocks: 2
; NumSGPRsForWavesPerEU: 30
; NumVGPRsForWavesPerEU: 22
; AccumOffset: 24
; Occupancy: 8
; WaveLimiterHint : 0
; COMPUTE_PGM_RSRC2:SCRATCH_EN: 0
; COMPUTE_PGM_RSRC2:USER_SGPR: 6
; COMPUTE_PGM_RSRC2:TRAP_HANDLER: 0
; COMPUTE_PGM_RSRC2:TGID_X_EN: 1
; COMPUTE_PGM_RSRC2:TGID_Y_EN: 0
; COMPUTE_PGM_RSRC2:TGID_Z_EN: 0
; COMPUTE_PGM_RSRC2:TIDIG_COMP_CNT: 0
; COMPUTE_PGM_RSRC3_GFX90A:ACCUM_OFFSET: 5
; COMPUTE_PGM_RSRC3_GFX90A:TG_SPLIT: 0
	.section	.text._ZN4vllm32rms_norm_static_fp8_quant_kernelIN3c104HalfENS1_15Float8_e4m3fnuzELi1EEEvPT0_PKT_iS8_PKffii,"axG",@progbits,_ZN4vllm32rms_norm_static_fp8_quant_kernelIN3c104HalfENS1_15Float8_e4m3fnuzELi1EEEvPT0_PKT_iS8_PKffii,comdat
	.protected	_ZN4vllm32rms_norm_static_fp8_quant_kernelIN3c104HalfENS1_15Float8_e4m3fnuzELi1EEEvPT0_PKT_iS8_PKffii ; -- Begin function _ZN4vllm32rms_norm_static_fp8_quant_kernelIN3c104HalfENS1_15Float8_e4m3fnuzELi1EEEvPT0_PKT_iS8_PKffii
	.globl	_ZN4vllm32rms_norm_static_fp8_quant_kernelIN3c104HalfENS1_15Float8_e4m3fnuzELi1EEEvPT0_PKT_iS8_PKffii
	.p2align	8
	.type	_ZN4vllm32rms_norm_static_fp8_quant_kernelIN3c104HalfENS1_15Float8_e4m3fnuzELi1EEEvPT0_PKT_iS8_PKffii,@function
_ZN4vllm32rms_norm_static_fp8_quant_kernelIN3c104HalfENS1_15Float8_e4m3fnuzELi1EEEvPT0_PKT_iS8_PKffii: ; @_ZN4vllm32rms_norm_static_fp8_quant_kernelIN3c104HalfENS1_15Float8_e4m3fnuzELi1EEEvPT0_PKT_iS8_PKffii
; %bb.0:
	s_load_dword s0, s[4:5], 0x10
	s_load_dwordx2 s[2:3], s[4:5], 0x8
	s_load_dword s18, s[4:5], 0x30
	s_load_dword s10, s[4:5], 0x44
	s_mov_b32 s1, 0
	s_waitcnt lgkmcnt(0)
	s_mul_i32 s0, s6, s0
	s_lshl_b64 s[8:9], s[0:1], 1
	s_add_u32 s19, s2, s8
	s_addc_u32 s7, s3, s9
	s_and_b32 s20, s10, 0xffff
	s_bitcmp1_b32 s19, 0
	s_cselect_b64 s[0:1], -1, 0
	s_and_b64 vcc, exec, s[0:1]
	s_cbranch_vccz .LBB19_6
; %bb.1:
	s_min_i32 s10, s18, 0
	s_sub_i32 s12, s18, s10
	v_cmp_gt_i32_e32 vcc, s12, v0
	v_mov_b32_e32 v4, 0
	s_and_saveexec_b64 s[0:1], vcc
	s_cbranch_execz .LBB19_5
; %bb.2:
	s_ashr_i32 s11, s10, 31
	s_lshl_b64 s[10:11], s[10:11], 1
	s_add_u32 s13, s2, s8
	s_addc_u32 s15, s3, s9
	s_add_u32 s10, s13, s10
	v_lshlrev_b32_e32 v1, 1, v0
	s_addc_u32 s11, s15, s11
	s_mov_b32 s14, 0
	v_mov_b32_e32 v3, s11
	v_add_co_u32_e32 v2, vcc, s10, v1
	v_addc_co_u32_e32 v3, vcc, 0, v3, vcc
	s_lshl_b32 s13, s20, 1
	s_mov_b64 s[10:11], 0
	v_mov_b32_e32 v4, 0
	v_mov_b32_e32 v1, s14
	;; [unrolled: 1-line block ×3, first 2 shown]
.LBB19_3:                               ; =>This Inner Loop Header: Depth=1
	global_load_ushort v6, v[2:3], off
	v_add_co_u32_e32 v2, vcc, s13, v2
	v_add_u32_e32 v5, s20, v5
	v_addc_co_u32_e32 v3, vcc, v3, v1, vcc
	v_cmp_le_i32_e32 vcc, s12, v5
	s_or_b64 s[10:11], vcc, s[10:11]
	s_waitcnt vmcnt(0)
	v_fma_mix_f32 v4, v6, v6, v4 op_sel_hi:[1,1,0]
	s_andn2_b64 exec, exec, s[10:11]
	s_cbranch_execnz .LBB19_3
; %bb.4:
	s_or_b64 exec, exec, s[10:11]
.LBB19_5:
	s_or_b64 exec, exec, s[0:1]
	v_cmp_gt_i32_e64 s[0:1], s18, v0
	s_cbranch_execz .LBB19_7
	s_branch .LBB19_12
.LBB19_6:
                                        ; implicit-def: $vgpr4
	v_cmp_gt_i32_e64 s[0:1], s18, v0
.LBB19_7:
	v_mov_b32_e32 v4, 0
	s_and_saveexec_b64 s[10:11], s[0:1]
	s_cbranch_execz .LBB19_11
; %bb.8:
	s_add_u32 s0, s2, s8
	v_lshlrev_b32_e32 v1, 1, v0
	s_addc_u32 s1, s3, s9
	s_mov_b32 s12, 0
	v_mov_b32_e32 v3, s1
	v_add_co_u32_e32 v2, vcc, s0, v1
	v_addc_co_u32_e32 v3, vcc, 0, v3, vcc
	s_lshl_b32 s2, s20, 1
	s_mov_b64 s[0:1], 0
	v_mov_b32_e32 v4, 0
	v_mov_b32_e32 v1, s12
	;; [unrolled: 1-line block ×3, first 2 shown]
.LBB19_9:                               ; =>This Inner Loop Header: Depth=1
	global_load_ushort v6, v[2:3], off
	v_add_co_u32_e32 v2, vcc, s2, v2
	v_add_u32_e32 v5, s20, v5
	v_addc_co_u32_e32 v3, vcc, v3, v1, vcc
	v_cmp_le_i32_e32 vcc, s18, v5
	s_or_b64 s[0:1], vcc, s[0:1]
	s_waitcnt vmcnt(0)
	v_fma_mix_f32 v4, v6, v6, v4 op_sel_hi:[1,1,0]
	s_andn2_b64 exec, exec, s[0:1]
	s_cbranch_execnz .LBB19_9
; %bb.10:
	s_or_b64 exec, exec, s[0:1]
.LBB19_11:
	s_or_b64 exec, exec, s[10:11]
.LBB19_12:
	v_mbcnt_lo_u32_b32 v1, -1, 0
	v_mbcnt_hi_u32_b32 v1, -1, v1
	v_and_b32_e32 v2, 63, v1
	v_cmp_ne_u32_e32 vcc, 63, v2
	v_addc_co_u32_e32 v3, vcc, 0, v1, vcc
	v_lshlrev_b32_e32 v3, 2, v3
	ds_bpermute_b32 v3, v3, v4
	v_and_b32_e32 v5, 0x3c0, v0
	v_sub_u32_e64 v5, s20, v5 clamp
	v_add_u32_e32 v6, 1, v1
	v_cmp_lt_u32_e32 vcc, v6, v5
	s_waitcnt lgkmcnt(0)
	v_add_f32_e32 v3, v4, v3
	v_cndmask_b32_e32 v3, v4, v3, vcc
	v_cmp_gt_u32_e32 vcc, 62, v2
	v_cndmask_b32_e64 v4, 0, 1, vcc
	v_lshlrev_b32_e32 v4, 1, v4
	v_add_lshl_u32 v4, v4, v1, 2
	ds_bpermute_b32 v4, v4, v3
	v_add_u32_e32 v6, 2, v1
	v_cmp_lt_u32_e32 vcc, v6, v5
	v_add_u32_e32 v6, 4, v1
	s_waitcnt lgkmcnt(0)
	v_add_f32_e32 v4, v3, v4
	v_cndmask_b32_e32 v3, v3, v4, vcc
	v_cmp_gt_u32_e32 vcc, 60, v2
	v_cndmask_b32_e64 v4, 0, 1, vcc
	v_lshlrev_b32_e32 v4, 2, v4
	v_add_lshl_u32 v4, v4, v1, 2
	ds_bpermute_b32 v4, v4, v3
	v_cmp_lt_u32_e32 vcc, v6, v5
	v_add_u32_e32 v6, 8, v1
	s_waitcnt lgkmcnt(0)
	v_add_f32_e32 v4, v3, v4
	v_cndmask_b32_e32 v3, v3, v4, vcc
	v_cmp_gt_u32_e32 vcc, 56, v2
	v_cndmask_b32_e64 v4, 0, 1, vcc
	v_lshlrev_b32_e32 v4, 3, v4
	v_add_lshl_u32 v4, v4, v1, 2
	ds_bpermute_b32 v4, v4, v3
	;; [unrolled: 10-line block ×3, first 2 shown]
	v_cmp_lt_u32_e32 vcc, v6, v5
	s_waitcnt lgkmcnt(0)
	v_add_f32_e32 v4, v3, v4
	v_cndmask_b32_e32 v3, v3, v4, vcc
	v_cmp_gt_u32_e32 vcc, 32, v2
	v_cndmask_b32_e64 v2, 0, 1, vcc
	v_lshlrev_b32_e32 v2, 5, v2
	v_add_lshl_u32 v2, v2, v1, 2
	ds_bpermute_b32 v2, v2, v3
	v_add_u32_e32 v4, 32, v1
	v_cmp_lt_u32_e32 vcc, v4, v5
	s_waitcnt lgkmcnt(0)
	v_add_f32_e32 v2, v3, v2
	v_cndmask_b32_e32 v2, v3, v2, vcc
	v_cmp_eq_u32_e32 vcc, 0, v1
	s_and_saveexec_b64 s[0:1], vcc
	s_cbranch_execz .LBB19_14
; %bb.13:
	v_lshrrev_b32_e32 v3, 4, v0
	v_and_b32_e32 v3, 60, v3
	ds_write_b32 v3, v2
.LBB19_14:
	s_or_b64 exec, exec, s[0:1]
	v_cmp_gt_u32_e32 vcc, 16, v0
	s_waitcnt lgkmcnt(0)
	s_barrier
	s_and_saveexec_b64 s[2:3], vcc
	s_cbranch_execz .LBB19_16
; %bb.15:
	v_lshlrev_b32_e32 v2, 2, v1
	ds_read_b32 v2, v2
	v_and_b32_e32 v3, 15, v1
	v_cmp_ne_u32_e32 vcc, 15, v3
	v_addc_co_u32_e32 v4, vcc, 0, v1, vcc
	v_lshlrev_b32_e32 v4, 2, v4
	s_waitcnt lgkmcnt(0)
	ds_bpermute_b32 v4, v4, v2
	s_add_i32 s0, s20, 63
	s_lshr_b32 s8, s0, 6
	v_add_u32_e32 v5, 1, v3
	v_cmp_gt_u32_e64 s[0:1], 14, v3
	v_cmp_gt_u32_e32 vcc, s8, v5
	v_cndmask_b32_e64 v5, 0, 1, s[0:1]
	s_waitcnt lgkmcnt(0)
	v_add_f32_e32 v4, v2, v4
	v_lshlrev_b32_e32 v5, 1, v5
	v_cndmask_b32_e32 v4, v2, v4, vcc
	v_add_lshl_u32 v5, v5, v1, 2
	ds_bpermute_b32 v5, v5, v4
	v_add_u32_e32 v6, 2, v3
	v_cmp_gt_u32_e64 s[0:1], s8, v6
	v_add_u32_e32 v6, 4, v3
	s_waitcnt lgkmcnt(0)
	v_add_f32_e32 v5, v4, v5
	v_cndmask_b32_e64 v4, v4, v5, s[0:1]
	v_cmp_gt_u32_e64 s[0:1], 12, v3
	v_cndmask_b32_e64 v5, 0, 1, s[0:1]
	v_lshlrev_b32_e32 v5, 2, v5
	v_add_lshl_u32 v5, v5, v1, 2
	ds_bpermute_b32 v5, v5, v4
	v_cmp_gt_u32_e64 s[0:1], s8, v6
	s_waitcnt lgkmcnt(0)
	v_add_f32_e32 v5, v4, v5
	v_cndmask_b32_e64 v4, v4, v5, s[0:1]
	v_cmp_gt_u32_e64 s[0:1], 8, v3
	v_cndmask_b32_e64 v5, 0, 1, s[0:1]
	v_lshlrev_b32_e32 v5, 3, v5
	v_add_lshl_u32 v1, v5, v1, 2
	ds_bpermute_b32 v1, v1, v4
	v_add_u32_e32 v3, 8, v3
	v_cmp_gt_u32_e64 s[0:1], s8, v3
	s_waitcnt lgkmcnt(0)
	v_add_f32_e32 v1, v4, v1
	v_cndmask_b32_e64 v1, v4, v1, s[0:1]
	v_cndmask_b32_e32 v2, v2, v1, vcc
.LBB19_16:
	s_or_b64 exec, exec, s[2:3]
	v_cmp_eq_u32_e32 vcc, 0, v0
	s_and_saveexec_b64 s[0:1], vcc
	s_cbranch_execz .LBB19_18
; %bb.17:
	v_cvt_f32_i32_e32 v1, s18
	s_load_dword s8, s[4:5], 0x28
	v_div_scale_f32 v3, s[2:3], v1, v1, v2
	v_rcp_f32_e32 v4, v3
	v_div_scale_f32 v5, vcc, v2, v1, v2
	s_mov_b32 s2, 0x800000
	v_fma_f32 v6, -v3, v4, 1.0
	v_fmac_f32_e32 v4, v6, v4
	v_mul_f32_e32 v6, v5, v4
	v_fma_f32 v7, -v3, v6, v5
	v_fmac_f32_e32 v6, v7, v4
	v_fma_f32 v3, -v3, v6, v5
	v_div_fmas_f32 v3, v3, v4, v6
	v_div_fixup_f32 v1, v3, v1, v2
	s_waitcnt lgkmcnt(0)
	v_add_f32_e32 v1, s8, v1
	v_mul_f32_e32 v2, 0x4b800000, v1
	v_cmp_gt_f32_e32 vcc, s2, v1
	v_cndmask_b32_e32 v1, v1, v2, vcc
	v_rsq_f32_e32 v1, v1
	v_mul_f32_e32 v2, 0x45800000, v1
	v_cndmask_b32_e32 v1, v1, v2, vcc
	v_mov_b32_e32 v2, 0
	ds_write_b32 v2, v1 offset:64
.LBB19_18:
	s_or_b64 exec, exec, s[0:1]
	v_cmp_gt_i32_e32 vcc, s18, v0
	s_waitcnt lgkmcnt(0)
	s_barrier
	s_and_saveexec_b64 s[0:1], vcc
	s_cbranch_execz .LBB19_31
; %bb.19:
	s_load_dwordx4 s[8:11], s[4:5], 0x18
	s_load_dwordx2 s[2:3], s[4:5], 0x0
	s_mul_i32 s21, s6, s18
	v_mov_b32_e32 v3, 0
	ds_read_b32 v7, v3 offset:64
	s_waitcnt lgkmcnt(0)
	s_load_dword s6, s[10:11], 0x0
	s_mov_b64 s[4:5], 0
	v_mov_b32_e32 v6, s7
	v_mov_b32_e32 v8, s9
	s_movk_i32 s9, 0x7f
	s_waitcnt lgkmcnt(0)
	v_div_scale_f32 v1, s[0:1], s6, s6, 1.0
	v_rcp_f32_e32 v2, v1
	v_div_scale_f32 v4, vcc, 1.0, s6, 1.0
	s_mov_b64 s[10:11], 0x43700001
	v_fma_f32 v5, -v1, v2, 1.0
	v_fmac_f32_e32 v2, v5, v2
	v_mul_f32_e32 v5, v4, v2
	v_fma_f32 v9, -v1, v5, v4
	v_fmac_f32_e32 v5, v9, v2
	v_fma_f32 v1, -v1, v5, v4
	v_div_fmas_f32 v1, v1, v2, v5
	v_div_fixup_f32 v9, v1, s6, 1.0
	s_mov_b64 s[6:7], 0x7f800000
	s_movk_i32 s22, 0x78
	s_movk_i32 s23, 0x80
	v_mov_b32_e32 v10, 0x77
	v_mov_b32_e32 v11, 0xffffff8a
	s_branch .LBB19_24
.LBB19_20:                              ;   in Loop: Header=BB19_24 Depth=1
	s_or_b64 exec, exec, s[0:1]
	v_lshrrev_b64 v[4:5], 20, v[4:5]
	v_cmp_gt_i32_e32 vcc, 16, v2
	v_and_b32_sdwa v1, v1, s23 dst_sel:DWORD dst_unused:UNUSED_PAD src0_sel:BYTE_3 src1_sel:DWORD
	v_min_i32_e32 v12, 15, v2
	v_cndmask_b32_e32 v5, 0, v5, vcc
	v_cndmask_b32_e32 v4, 7, v4, vcc
	v_cmp_eq_u32_e32 vcc, 0, v2
	v_cmp_eq_u64_e64 s[0:1], 0, v[4:5]
	v_lshl_or_b32 v1, v12, 3, v1
	v_and_or_b32 v1, v4, 7, v1
	s_and_b64 s[0:1], vcc, s[0:1]
	v_cndmask_b32_e64 v4, v1, 0, s[0:1]
.LBB19_21:                              ;   in Loop: Header=BB19_24 Depth=1
	s_or_b64 exec, exec, s[16:17]
.LBB19_22:                              ;   in Loop: Header=BB19_24 Depth=1
	s_andn2_saveexec_b64 s[0:1], s[14:15]
	s_or_b64 exec, exec, s[0:1]
.LBB19_23:                              ;   in Loop: Header=BB19_24 Depth=1
	s_andn2_saveexec_b64 s[0:1], s[12:13]
	s_or_b64 exec, exec, s[0:1]
	v_add_u32_e32 v1, s21, v0
	v_add_u32_e32 v0, s20, v0
	v_cmp_le_i32_e32 vcc, s18, v0
	s_or_b64 s[4:5], vcc, s[4:5]
	global_store_byte v1, v4, s[2:3]
	s_andn2_b64 exec, exec, s[4:5]
	s_cbranch_execz .LBB19_31
.LBB19_24:                              ; =>This Inner Loop Header: Depth=1
	v_ashrrev_i32_e32 v1, 31, v0
	v_lshlrev_b64 v[4:5], 1, v[0:1]
	v_add_co_u32_e32 v12, vcc, s19, v4
	v_addc_co_u32_e32 v13, vcc, v6, v5, vcc
	v_add_co_u32_e32 v4, vcc, s8, v4
	global_load_ushort v1, v[12:13], off
	v_addc_co_u32_e32 v5, vcc, v8, v5, vcc
	global_load_ushort v2, v[4:5], off
	s_waitcnt vmcnt(1)
	v_fma_mixlo_f16 v1, v7, v1, 0 op_sel_hi:[0,1,0]
	s_waitcnt vmcnt(0)
	v_mul_f16_e32 v1, v2, v1
	v_cvt_f32_f16_e32 v1, v1
	v_mul_f32_e32 v1, v9, v1
	v_min_f32_e32 v1, 0x43600000, v1
	v_max_f32_e32 v1, 0xc3600000, v1
	v_and_b32_e32 v2, 0x7f800000, v1
	v_or_b32_sdwa v4, v1, s9 dst_sel:DWORD dst_unused:UNUSED_PAD src0_sel:BYTE_3 src1_sel:DWORD
	v_cmp_ne_u64_e32 vcc, s[6:7], v[2:3]
	s_and_saveexec_b64 s[0:1], vcc
	s_xor_b64 s[12:13], exec, s[0:1]
	s_cbranch_execz .LBB19_23
; %bb.25:                               ;   in Loop: Header=BB19_24 Depth=1
	v_and_b32_e32 v2, 0x7fffffff, v1
	v_cmp_gt_u64_e32 vcc, s[10:11], v[2:3]
	s_and_saveexec_b64 s[0:1], vcc
	s_xor_b64 s[14:15], exec, s[0:1]
	s_cbranch_execz .LBB19_22
; %bb.26:                               ;   in Loop: Header=BB19_24 Depth=1
	v_cmp_ne_u32_e32 vcc, 0, v1
	v_mov_b32_e32 v4, 0
	s_and_saveexec_b64 s[16:17], vcc
	s_cbranch_execz .LBB19_21
; %bb.27:                               ;   in Loop: Header=BB19_24 Depth=1
	v_bfe_u32 v4, v1, 23, 8
	v_sub_u32_e64 v5, s22, v4 clamp
	v_cmp_eq_u32_e32 vcc, 0, v4
	v_cndmask_b32_e32 v15, v5, v10, vcc
	v_and_b32_e32 v2, 0x7fffff, v1
	v_add_u32_e32 v14, 0xffffff89, v4
	v_add_u32_e32 v4, 20, v15
	v_or_b32_e32 v12, 0x800000, v2
	v_lshlrev_b64 v[4:5], v4, -1
	v_cndmask_b32_e32 v2, v12, v2, vcc
	v_not_b32_e32 v4, v4
	v_add_u32_e32 v12, 19, v15
	v_and_b32_e32 v4, v2, v4
	v_mov_b32_e32 v5, v3
	v_lshlrev_b64 v[12:13], v12, 1
	v_cmp_eq_u64_e64 s[0:1], v[4:5], v[12:13]
	s_waitcnt vmcnt(0) expcnt(0) lgkmcnt(0)
	v_swap_b32 v0, v15
	v_lshrrev_b64 v[4:5], v0, v[2:3]
	v_swap_b32 v15, v0
	v_cndmask_b32_e32 v2, v14, v11, vcc
	v_lshrrev_b32_e32 v12, 23, v4
	v_add3_u32 v12, v2, v15, v12
	v_and_b32_e32 v2, 0x100000, v4
	v_cmp_eq_u64_e32 vcc, 0, v[2:3]
	s_and_b64 vcc, vcc, s[0:1]
	v_subbrev_co_u32_e32 v2, vcc, 0, v4, vcc
	v_and_b32_e32 v2, 0xfffff, v2
	v_add_co_u32_e32 v4, vcc, v2, v4
	v_add_u32_e32 v13, -1, v12
	v_addc_co_u32_e32 v5, vcc, 0, v5, vcc
	v_cmp_ne_u32_e32 vcc, 0, v13
                                        ; implicit-def: $vgpr2
	s_and_saveexec_b64 s[0:1], vcc
	s_xor_b64 s[0:1], exec, s[0:1]
; %bb.28:                               ;   in Loop: Header=BB19_24 Depth=1
	v_and_b32_e32 v2, 0x1000000, v4
	v_cmp_eq_u64_e32 vcc, 0, v[2:3]
	v_cndmask_b32_e32 v2, v12, v13, vcc
	v_bfe_u32 v12, v4, 24, 1
	v_lshrrev_b64 v[4:5], v12, v[4:5]
; %bb.29:                               ;   in Loop: Header=BB19_24 Depth=1
	s_andn2_saveexec_b64 s[0:1], s[0:1]
	s_cbranch_execz .LBB19_20
; %bb.30:                               ;   in Loop: Header=BB19_24 Depth=1
	v_bfe_u32 v2, v4, 23, 1
	s_branch .LBB19_20
.LBB19_31:
	s_endpgm
	.section	.rodata,"a",@progbits
	.p2align	6, 0x0
	.amdhsa_kernel _ZN4vllm32rms_norm_static_fp8_quant_kernelIN3c104HalfENS1_15Float8_e4m3fnuzELi1EEEvPT0_PKT_iS8_PKffii
		.amdhsa_group_segment_fixed_size 68
		.amdhsa_private_segment_fixed_size 0
		.amdhsa_kernarg_size 312
		.amdhsa_user_sgpr_count 6
		.amdhsa_user_sgpr_private_segment_buffer 1
		.amdhsa_user_sgpr_dispatch_ptr 0
		.amdhsa_user_sgpr_queue_ptr 0
		.amdhsa_user_sgpr_kernarg_segment_ptr 1
		.amdhsa_user_sgpr_dispatch_id 0
		.amdhsa_user_sgpr_flat_scratch_init 0
		.amdhsa_user_sgpr_kernarg_preload_length 0
		.amdhsa_user_sgpr_kernarg_preload_offset 0
		.amdhsa_user_sgpr_private_segment_size 0
		.amdhsa_uses_dynamic_stack 0
		.amdhsa_system_sgpr_private_segment_wavefront_offset 0
		.amdhsa_system_sgpr_workgroup_id_x 1
		.amdhsa_system_sgpr_workgroup_id_y 0
		.amdhsa_system_sgpr_workgroup_id_z 0
		.amdhsa_system_sgpr_workgroup_info 0
		.amdhsa_system_vgpr_workitem_id 0
		.amdhsa_next_free_vgpr 16
		.amdhsa_next_free_sgpr 24
		.amdhsa_accum_offset 16
		.amdhsa_reserve_vcc 1
		.amdhsa_reserve_flat_scratch 0
		.amdhsa_float_round_mode_32 0
		.amdhsa_float_round_mode_16_64 0
		.amdhsa_float_denorm_mode_32 3
		.amdhsa_float_denorm_mode_16_64 3
		.amdhsa_dx10_clamp 1
		.amdhsa_ieee_mode 1
		.amdhsa_fp16_overflow 0
		.amdhsa_tg_split 0
		.amdhsa_exception_fp_ieee_invalid_op 0
		.amdhsa_exception_fp_denorm_src 0
		.amdhsa_exception_fp_ieee_div_zero 0
		.amdhsa_exception_fp_ieee_overflow 0
		.amdhsa_exception_fp_ieee_underflow 0
		.amdhsa_exception_fp_ieee_inexact 0
		.amdhsa_exception_int_div_zero 0
	.end_amdhsa_kernel
	.section	.text._ZN4vllm32rms_norm_static_fp8_quant_kernelIN3c104HalfENS1_15Float8_e4m3fnuzELi1EEEvPT0_PKT_iS8_PKffii,"axG",@progbits,_ZN4vllm32rms_norm_static_fp8_quant_kernelIN3c104HalfENS1_15Float8_e4m3fnuzELi1EEEvPT0_PKT_iS8_PKffii,comdat
.Lfunc_end19:
	.size	_ZN4vllm32rms_norm_static_fp8_quant_kernelIN3c104HalfENS1_15Float8_e4m3fnuzELi1EEEvPT0_PKT_iS8_PKffii, .Lfunc_end19-_ZN4vllm32rms_norm_static_fp8_quant_kernelIN3c104HalfENS1_15Float8_e4m3fnuzELi1EEEvPT0_PKT_iS8_PKffii
                                        ; -- End function
	.section	.AMDGPU.csdata,"",@progbits
; Kernel info:
; codeLenInByte = 1908
; NumSgprs: 28
; NumVgprs: 16
; NumAgprs: 0
; TotalNumVgprs: 16
; ScratchSize: 0
; MemoryBound: 0
; FloatMode: 240
; IeeeMode: 1
; LDSByteSize: 68 bytes/workgroup (compile time only)
; SGPRBlocks: 3
; VGPRBlocks: 1
; NumSGPRsForWavesPerEU: 28
; NumVGPRsForWavesPerEU: 16
; AccumOffset: 16
; Occupancy: 8
; WaveLimiterHint : 0
; COMPUTE_PGM_RSRC2:SCRATCH_EN: 0
; COMPUTE_PGM_RSRC2:USER_SGPR: 6
; COMPUTE_PGM_RSRC2:TRAP_HANDLER: 0
; COMPUTE_PGM_RSRC2:TGID_X_EN: 1
; COMPUTE_PGM_RSRC2:TGID_Y_EN: 0
; COMPUTE_PGM_RSRC2:TGID_Z_EN: 0
; COMPUTE_PGM_RSRC2:TIDIG_COMP_CNT: 0
; COMPUTE_PGM_RSRC3_GFX90A:ACCUM_OFFSET: 3
; COMPUTE_PGM_RSRC3_GFX90A:TG_SPLIT: 0
	.section	.text._ZN4vllm32rms_norm_static_fp8_quant_kernelIN3c108BFloat16ENS1_13Float8_e4m3fnELi16EEEvPT0_PKT_iS8_PKffii,"axG",@progbits,_ZN4vllm32rms_norm_static_fp8_quant_kernelIN3c108BFloat16ENS1_13Float8_e4m3fnELi16EEEvPT0_PKT_iS8_PKffii,comdat
	.protected	_ZN4vllm32rms_norm_static_fp8_quant_kernelIN3c108BFloat16ENS1_13Float8_e4m3fnELi16EEEvPT0_PKT_iS8_PKffii ; -- Begin function _ZN4vllm32rms_norm_static_fp8_quant_kernelIN3c108BFloat16ENS1_13Float8_e4m3fnELi16EEEvPT0_PKT_iS8_PKffii
	.globl	_ZN4vllm32rms_norm_static_fp8_quant_kernelIN3c108BFloat16ENS1_13Float8_e4m3fnELi16EEEvPT0_PKT_iS8_PKffii
	.p2align	8
	.type	_ZN4vllm32rms_norm_static_fp8_quant_kernelIN3c108BFloat16ENS1_13Float8_e4m3fnELi16EEEvPT0_PKT_iS8_PKffii,@function
_ZN4vllm32rms_norm_static_fp8_quant_kernelIN3c108BFloat16ENS1_13Float8_e4m3fnELi16EEEvPT0_PKT_iS8_PKffii: ; @_ZN4vllm32rms_norm_static_fp8_quant_kernelIN3c108BFloat16ENS1_13Float8_e4m3fnELi16EEEvPT0_PKT_iS8_PKffii
; %bb.0:
	s_load_dword s2, s[4:5], 0x10
	s_load_dwordx2 s[0:1], s[4:5], 0x8
	s_load_dword s7, s[4:5], 0x30
	s_load_dword s10, s[4:5], 0x44
	s_mov_b32 s9, 0
	s_waitcnt lgkmcnt(0)
	s_mul_i32 s8, s6, s2
	s_lshl_b64 s[2:3], s[8:9], 1
	s_add_u32 s18, s0, s2
	s_addc_u32 s19, s1, s3
	s_and_b32 s20, s10, 0xffff
	s_and_b32 s8, s18, 31
	s_cmp_lg_u64 s[8:9], 0
	s_cselect_b64 s[8:9], -1, 0
	s_and_b32 s10, s7, 15
	s_cmp_lg_u32 s10, 0
	s_cselect_b64 s[10:11], -1, 0
	s_or_b64 s[8:9], s[8:9], s[10:11]
	s_and_b64 vcc, exec, s[8:9]
	s_cbranch_vccz .LBB20_14
; %bb.1:
	s_sub_i32 s8, 0, s18
	s_bfe_u32 s8, s8, 0x40001
	s_min_i32 s8, s8, s7
	v_cmp_gt_i32_e32 vcc, s8, v0
	v_mov_b32_e32 v1, 0
	s_and_saveexec_b64 s[10:11], vcc
	s_cbranch_execz .LBB20_5
; %bb.2:
	s_add_u32 s9, s0, s2
	v_lshlrev_b32_e32 v1, 1, v0
	s_addc_u32 s12, s1, s3
	s_mov_b32 s14, 0
	v_mov_b32_e32 v3, s12
	v_add_co_u32_e32 v2, vcc, s9, v1
	v_addc_co_u32_e32 v3, vcc, 0, v3, vcc
	s_lshl_b32 s9, s20, 1
	s_mov_b64 s[12:13], 0
	v_mov_b32_e32 v1, 0
	v_mov_b32_e32 v4, s14
	;; [unrolled: 1-line block ×3, first 2 shown]
.LBB20_3:                               ; =>This Inner Loop Header: Depth=1
	global_load_ushort v6, v[2:3], off
	v_add_co_u32_e32 v2, vcc, s9, v2
	v_add_u32_e32 v5, s20, v5
	v_addc_co_u32_e32 v3, vcc, v3, v4, vcc
	v_cmp_le_i32_e32 vcc, s8, v5
	s_or_b64 s[12:13], vcc, s[12:13]
	s_waitcnt vmcnt(0)
	v_lshlrev_b32_e32 v6, 16, v6
	v_fmac_f32_e32 v1, v6, v6
	s_andn2_b64 exec, exec, s[12:13]
	s_cbranch_execnz .LBB20_3
; %bb.4:
	s_or_b64 exec, exec, s[12:13]
.LBB20_5:
	s_or_b64 exec, exec, s[10:11]
	s_sub_i32 s14, s7, s8
	s_ashr_i32 s10, s14, 31
	s_lshr_b32 s10, s10, 28
	s_add_i32 s10, s14, s10
	s_ashr_i32 s15, s10, 4
	s_ashr_i32 s9, s8, 31
	v_cmp_gt_i32_e32 vcc, s15, v0
	s_and_saveexec_b64 s[10:11], vcc
	s_cbranch_execz .LBB20_9
; %bb.6:
	s_lshl_b64 s[12:13], s[8:9], 1
	s_add_u32 s16, s0, s2
	s_addc_u32 s21, s1, s3
	s_add_u32 s12, s16, s12
	v_lshlrev_b32_e32 v2, 5, v0
	s_addc_u32 s13, s21, s13
	s_mov_b32 s17, 0
	v_mov_b32_e32 v3, s13
	v_add_co_u32_e32 v2, vcc, s12, v2
	v_addc_co_u32_e32 v3, vcc, 0, v3, vcc
	s_lshl_b32 s16, s20, 5
	s_mov_b64 s[12:13], 0
	v_mov_b32_e32 v4, s17
	v_mov_b32_e32 v5, v0
.LBB20_7:                               ; =>This Inner Loop Header: Depth=1
	global_load_dwordx4 v[6:9], v[2:3], off
	global_load_dwordx4 v[10:13], v[2:3], off offset:16
	v_add_co_u32_e32 v2, vcc, s16, v2
	v_add_u32_e32 v5, s20, v5
	v_addc_co_u32_e32 v3, vcc, v3, v4, vcc
	v_cmp_le_i32_e32 vcc, s15, v5
	s_or_b64 s[12:13], vcc, s[12:13]
	s_waitcnt vmcnt(1)
	v_lshlrev_b32_e32 v20, 16, v6
	v_and_b32_e32 v21, 0xffff0000, v6
	v_fmac_f32_e32 v1, v20, v20
	v_lshlrev_b32_e32 v22, 16, v7
	v_fmac_f32_e32 v1, v21, v21
	v_and_b32_e32 v23, 0xffff0000, v7
	v_and_b32_e32 v7, 0xffff0000, v8
	v_lshlrev_b32_e32 v6, 16, v8
	v_fmac_f32_e32 v1, v22, v22
	v_pk_mul_f32 v[6:7], v[6:7], v[6:7]
	v_fmac_f32_e32 v1, v23, v23
	v_and_b32_e32 v15, 0xffff0000, v9
	v_lshlrev_b32_e32 v14, 16, v9
	v_add_f32_e32 v1, v1, v6
	s_waitcnt vmcnt(0)
	v_and_b32_e32 v9, 0xffff0000, v10
	v_lshlrev_b32_e32 v8, 16, v10
	v_and_b32_e32 v17, 0xffff0000, v11
	v_lshlrev_b32_e32 v16, 16, v11
	;; [unrolled: 2-line block ×4, first 2 shown]
	v_pk_mul_f32 v[12:13], v[14:15], v[14:15]
	v_add_f32_e32 v1, v1, v7
	v_add_f32_e32 v1, v1, v12
	v_pk_mul_f32 v[8:9], v[8:9], v[8:9]
	v_add_f32_e32 v1, v1, v13
	v_add_f32_e32 v1, v1, v8
	v_pk_mul_f32 v[14:15], v[16:17], v[16:17]
	v_add_f32_e32 v1, v1, v9
	v_add_f32_e32 v1, v1, v14
	v_pk_mul_f32 v[10:11], v[10:11], v[10:11]
	v_add_f32_e32 v1, v1, v15
	v_add_f32_e32 v1, v1, v10
	v_pk_mul_f32 v[16:17], v[18:19], v[18:19]
	v_add_f32_e32 v1, v1, v11
	v_add_f32_e32 v1, v1, v16
	v_add_f32_e32 v1, v1, v17
	s_andn2_b64 exec, exec, s[12:13]
	s_cbranch_execnz .LBB20_7
; %bb.8:
	s_or_b64 exec, exec, s[12:13]
.LBB20_9:
	s_or_b64 exec, exec, s[10:11]
	v_lshl_add_u32 v2, s15, 4, v0
	v_cmp_gt_i32_e32 vcc, s14, v2
	s_and_saveexec_b64 s[10:11], vcc
	s_cbranch_execz .LBB20_13
; %bb.10:
	s_lshl_b64 s[8:9], s[8:9], 1
	s_add_u32 s12, s0, s2
	s_addc_u32 s13, s1, s3
	v_ashrrev_i32_e32 v3, 31, v2
	s_add_u32 s8, s12, s8
	v_lshlrev_b64 v[4:5], 1, v[2:3]
	s_addc_u32 s9, s13, s9
	v_mov_b32_e32 v3, s9
	v_add_co_u32_e32 v4, vcc, s8, v4
	s_mov_b32 s13, 0
	v_addc_co_u32_e32 v5, vcc, v3, v5, vcc
	s_lshl_b32 s12, s20, 1
	s_mov_b64 s[8:9], 0
	v_mov_b32_e32 v3, s13
.LBB20_11:                              ; =>This Inner Loop Header: Depth=1
	global_load_ushort v6, v[4:5], off
	v_add_co_u32_e32 v4, vcc, s12, v4
	v_add_u32_e32 v2, s20, v2
	v_addc_co_u32_e32 v5, vcc, v5, v3, vcc
	v_cmp_le_i32_e32 vcc, s14, v2
	s_or_b64 s[8:9], vcc, s[8:9]
	s_waitcnt vmcnt(0)
	v_lshlrev_b32_e32 v6, 16, v6
	v_fmac_f32_e32 v1, v6, v6
	s_andn2_b64 exec, exec, s[8:9]
	s_cbranch_execnz .LBB20_11
; %bb.12:
	s_or_b64 exec, exec, s[8:9]
.LBB20_13:
	s_or_b64 exec, exec, s[10:11]
	s_branch .LBB20_20
.LBB20_14:
                                        ; implicit-def: $vgpr1
	s_cbranch_execz .LBB20_20
; %bb.15:
	s_ashr_i32 s10, s7, 4
	v_cmp_gt_i32_e32 vcc, s10, v0
	v_mov_b32_e32 v1, 0
	s_and_saveexec_b64 s[8:9], vcc
	s_cbranch_execz .LBB20_19
; %bb.16:
	s_add_u32 s0, s0, s2
	v_lshlrev_b32_e32 v1, 5, v0
	s_addc_u32 s1, s1, s3
	s_mov_b32 s11, 0
	v_mov_b32_e32 v3, s1
	v_add_co_u32_e32 v2, vcc, s0, v1
	v_addc_co_u32_e32 v3, vcc, 0, v3, vcc
	s_lshl_b32 s2, s20, 5
	s_mov_b64 s[0:1], 0
	v_mov_b32_e32 v1, 0
	v_mov_b32_e32 v4, s11
	;; [unrolled: 1-line block ×3, first 2 shown]
.LBB20_17:                              ; =>This Inner Loop Header: Depth=1
	global_load_dwordx4 v[6:9], v[2:3], off
	global_load_dwordx4 v[10:13], v[2:3], off offset:16
	v_add_co_u32_e32 v2, vcc, s2, v2
	v_add_u32_e32 v5, s20, v5
	v_addc_co_u32_e32 v3, vcc, v3, v4, vcc
	v_cmp_le_i32_e32 vcc, s10, v5
	s_or_b64 s[0:1], vcc, s[0:1]
	s_waitcnt vmcnt(1)
	v_lshlrev_b32_e32 v20, 16, v6
	v_and_b32_e32 v21, 0xffff0000, v6
	v_fmac_f32_e32 v1, v20, v20
	v_lshlrev_b32_e32 v22, 16, v7
	v_fmac_f32_e32 v1, v21, v21
	v_and_b32_e32 v23, 0xffff0000, v7
	v_and_b32_e32 v7, 0xffff0000, v8
	v_lshlrev_b32_e32 v6, 16, v8
	v_fmac_f32_e32 v1, v22, v22
	v_pk_mul_f32 v[6:7], v[6:7], v[6:7]
	v_fmac_f32_e32 v1, v23, v23
	v_and_b32_e32 v15, 0xffff0000, v9
	v_lshlrev_b32_e32 v14, 16, v9
	v_add_f32_e32 v1, v6, v1
	s_waitcnt vmcnt(0)
	v_and_b32_e32 v9, 0xffff0000, v10
	v_lshlrev_b32_e32 v8, 16, v10
	v_and_b32_e32 v17, 0xffff0000, v11
	v_lshlrev_b32_e32 v16, 16, v11
	v_and_b32_e32 v11, 0xffff0000, v12
	v_lshlrev_b32_e32 v10, 16, v12
	v_and_b32_e32 v19, 0xffff0000, v13
	v_lshlrev_b32_e32 v18, 16, v13
	v_pk_mul_f32 v[12:13], v[14:15], v[14:15]
	v_add_f32_e32 v1, v7, v1
	v_add_f32_e32 v1, v12, v1
	v_pk_mul_f32 v[8:9], v[8:9], v[8:9]
	v_add_f32_e32 v1, v13, v1
	v_add_f32_e32 v1, v8, v1
	;; [unrolled: 3-line block ×5, first 2 shown]
	v_add_f32_e32 v1, v17, v1
	s_andn2_b64 exec, exec, s[0:1]
	s_cbranch_execnz .LBB20_17
; %bb.18:
	s_or_b64 exec, exec, s[0:1]
.LBB20_19:
	s_or_b64 exec, exec, s[8:9]
.LBB20_20:
	v_mbcnt_lo_u32_b32 v2, -1, 0
	v_mbcnt_hi_u32_b32 v2, -1, v2
	v_and_b32_e32 v3, 63, v2
	v_cmp_ne_u32_e32 vcc, 63, v3
	v_addc_co_u32_e32 v4, vcc, 0, v2, vcc
	v_lshlrev_b32_e32 v4, 2, v4
	ds_bpermute_b32 v4, v4, v1
	v_and_b32_e32 v5, 0x3c0, v0
	v_sub_u32_e64 v5, s20, v5 clamp
	v_add_u32_e32 v6, 1, v2
	v_cmp_lt_u32_e32 vcc, v6, v5
	s_waitcnt lgkmcnt(0)
	v_add_f32_e32 v4, v1, v4
	v_cndmask_b32_e32 v1, v1, v4, vcc
	v_cmp_gt_u32_e32 vcc, 62, v3
	v_cndmask_b32_e64 v4, 0, 1, vcc
	v_lshlrev_b32_e32 v4, 1, v4
	v_add_lshl_u32 v4, v4, v2, 2
	ds_bpermute_b32 v4, v4, v1
	v_add_u32_e32 v6, 2, v2
	v_cmp_lt_u32_e32 vcc, v6, v5
	v_add_u32_e32 v6, 4, v2
	s_waitcnt lgkmcnt(0)
	v_add_f32_e32 v4, v1, v4
	v_cndmask_b32_e32 v1, v1, v4, vcc
	v_cmp_gt_u32_e32 vcc, 60, v3
	v_cndmask_b32_e64 v4, 0, 1, vcc
	v_lshlrev_b32_e32 v4, 2, v4
	v_add_lshl_u32 v4, v4, v2, 2
	ds_bpermute_b32 v4, v4, v1
	v_cmp_lt_u32_e32 vcc, v6, v5
	v_add_u32_e32 v6, 8, v2
	s_waitcnt lgkmcnt(0)
	v_add_f32_e32 v4, v1, v4
	v_cndmask_b32_e32 v1, v1, v4, vcc
	v_cmp_gt_u32_e32 vcc, 56, v3
	v_cndmask_b32_e64 v4, 0, 1, vcc
	v_lshlrev_b32_e32 v4, 3, v4
	v_add_lshl_u32 v4, v4, v2, 2
	ds_bpermute_b32 v4, v4, v1
	;; [unrolled: 10-line block ×3, first 2 shown]
	v_cmp_lt_u32_e32 vcc, v6, v5
	s_waitcnt lgkmcnt(0)
	v_add_f32_e32 v4, v1, v4
	v_cndmask_b32_e32 v1, v1, v4, vcc
	v_cmp_gt_u32_e32 vcc, 32, v3
	v_cndmask_b32_e64 v3, 0, 1, vcc
	v_lshlrev_b32_e32 v3, 5, v3
	v_add_lshl_u32 v3, v3, v2, 2
	ds_bpermute_b32 v3, v3, v1
	v_add_u32_e32 v4, 32, v2
	v_cmp_lt_u32_e32 vcc, v4, v5
	s_waitcnt lgkmcnt(0)
	v_add_f32_e32 v3, v1, v3
	v_cndmask_b32_e32 v1, v1, v3, vcc
	v_cmp_eq_u32_e32 vcc, 0, v2
	s_and_saveexec_b64 s[0:1], vcc
	s_cbranch_execz .LBB20_22
; %bb.21:
	v_lshrrev_b32_e32 v3, 4, v0
	v_and_b32_e32 v3, 60, v3
	ds_write_b32 v3, v1
.LBB20_22:
	s_or_b64 exec, exec, s[0:1]
	v_cmp_gt_u32_e32 vcc, 16, v0
	s_waitcnt lgkmcnt(0)
	s_barrier
	s_and_saveexec_b64 s[2:3], vcc
	s_cbranch_execz .LBB20_24
; %bb.23:
	v_lshlrev_b32_e32 v1, 2, v2
	ds_read_b32 v1, v1
	v_and_b32_e32 v3, 15, v2
	v_cmp_ne_u32_e32 vcc, 15, v3
	v_addc_co_u32_e32 v4, vcc, 0, v2, vcc
	v_lshlrev_b32_e32 v4, 2, v4
	s_waitcnt lgkmcnt(0)
	ds_bpermute_b32 v4, v4, v1
	s_add_i32 s0, s20, 63
	s_lshr_b32 s8, s0, 6
	v_add_u32_e32 v5, 1, v3
	v_cmp_gt_u32_e64 s[0:1], 14, v3
	v_cmp_gt_u32_e32 vcc, s8, v5
	v_cndmask_b32_e64 v5, 0, 1, s[0:1]
	s_waitcnt lgkmcnt(0)
	v_add_f32_e32 v4, v1, v4
	v_lshlrev_b32_e32 v5, 1, v5
	v_cndmask_b32_e32 v4, v1, v4, vcc
	v_add_lshl_u32 v5, v5, v2, 2
	ds_bpermute_b32 v5, v5, v4
	v_add_u32_e32 v6, 2, v3
	v_cmp_gt_u32_e64 s[0:1], s8, v6
	v_add_u32_e32 v6, 4, v3
	s_waitcnt lgkmcnt(0)
	v_add_f32_e32 v5, v4, v5
	v_cndmask_b32_e64 v4, v4, v5, s[0:1]
	v_cmp_gt_u32_e64 s[0:1], 12, v3
	v_cndmask_b32_e64 v5, 0, 1, s[0:1]
	v_lshlrev_b32_e32 v5, 2, v5
	v_add_lshl_u32 v5, v5, v2, 2
	ds_bpermute_b32 v5, v5, v4
	v_cmp_gt_u32_e64 s[0:1], s8, v6
	s_waitcnt lgkmcnt(0)
	v_add_f32_e32 v5, v4, v5
	v_cndmask_b32_e64 v4, v4, v5, s[0:1]
	v_cmp_gt_u32_e64 s[0:1], 8, v3
	v_cndmask_b32_e64 v5, 0, 1, s[0:1]
	v_lshlrev_b32_e32 v5, 3, v5
	v_add_lshl_u32 v2, v5, v2, 2
	ds_bpermute_b32 v2, v2, v4
	v_add_u32_e32 v3, 8, v3
	v_cmp_gt_u32_e64 s[0:1], s8, v3
	s_waitcnt lgkmcnt(0)
	v_add_f32_e32 v2, v4, v2
	v_cndmask_b32_e64 v2, v4, v2, s[0:1]
	v_cndmask_b32_e32 v1, v1, v2, vcc
.LBB20_24:
	s_or_b64 exec, exec, s[2:3]
	v_cmp_eq_u32_e32 vcc, 0, v0
	s_and_saveexec_b64 s[0:1], vcc
	s_cbranch_execz .LBB20_26
; %bb.25:
	v_cvt_f32_i32_e32 v2, s7
	s_load_dword s8, s[4:5], 0x28
	v_div_scale_f32 v3, s[2:3], v2, v2, v1
	v_rcp_f32_e32 v4, v3
	v_div_scale_f32 v5, vcc, v1, v2, v1
	s_mov_b32 s2, 0x800000
	v_fma_f32 v6, -v3, v4, 1.0
	v_fmac_f32_e32 v4, v6, v4
	v_mul_f32_e32 v6, v5, v4
	v_fma_f32 v7, -v3, v6, v5
	v_fmac_f32_e32 v6, v7, v4
	v_fma_f32 v3, -v3, v6, v5
	v_div_fmas_f32 v3, v3, v4, v6
	v_div_fixup_f32 v1, v3, v2, v1
	s_waitcnt lgkmcnt(0)
	v_add_f32_e32 v1, s8, v1
	v_mul_f32_e32 v2, 0x4b800000, v1
	v_cmp_gt_f32_e32 vcc, s2, v1
	v_cndmask_b32_e32 v1, v1, v2, vcc
	v_rsq_f32_e32 v1, v1
	v_mul_f32_e32 v2, 0x45800000, v1
	v_cndmask_b32_e32 v1, v1, v2, vcc
	v_mov_b32_e32 v2, 0
	ds_write_b32 v2, v1 offset:64
.LBB20_26:
	s_or_b64 exec, exec, s[0:1]
	s_ashr_i32 s0, s7, 31
	s_lshr_b32 s0, s0, 28
	s_add_i32 s0, s7, s0
	s_ashr_i32 s21, s0, 4
	v_cmp_gt_i32_e32 vcc, s21, v0
	s_waitcnt lgkmcnt(0)
	s_barrier
	s_and_saveexec_b64 s[0:1], vcc
	s_cbranch_execz .LBB20_285
; %bb.27:
	s_load_dwordx4 s[8:11], s[4:5], 0x18
	s_load_dwordx2 s[2:3], s[4:5], 0x0
	v_mov_b32_e32 v19, 0
	ds_read_b32 v1, v19 offset:64
	s_mul_i32 s6, s6, s7
	s_waitcnt lgkmcnt(0)
	s_load_dword s4, s[10:11], 0x0
	s_lshl_b32 s22, s20, 4
	v_lshlrev_b32_e32 v20, 5, v0
	v_lshl_add_u32 v21, v0, 4, s6
	s_lshl_b32 s23, s20, 5
	s_waitcnt lgkmcnt(0)
	v_div_scale_f32 v2, s[0:1], s4, s4, 1.0
	v_rcp_f32_e32 v3, v2
	v_div_scale_f32 v4, vcc, 1.0, s4, 1.0
	s_movk_i32 s24, 0x7fff
	v_fma_f32 v5, -v2, v3, 1.0
	v_fmac_f32_e32 v3, v5, v3
	v_mul_f32_e32 v5, v4, v3
	v_fma_f32 v6, -v2, v5, v4
	v_fmac_f32_e32 v5, v6, v3
	v_fma_f32 v2, -v2, v5, v4
	v_div_fmas_f32 v2, v2, v3, v5
	v_div_fixup_f32 v24, v2, s4, 1.0
	s_mov_b64 s[4:5], 0
	v_mov_b32_e32 v25, 0x7fc00000
	s_movk_i32 s25, 0x80
	s_mov_b64 s[6:7], 0x7f800000
	s_mov_b64 s[10:11], 0x43e00001
	s_movk_i32 s26, 0x79
	s_movk_i32 s27, 0x7f
	v_mov_b32_e32 v26, 0x78
	v_mov_b32_e32 v27, 0xffffff89
	s_branch .LBB20_29
.LBB20_28:                              ;   in Loop: Header=BB20_29 Depth=1
	s_or_b64 exec, exec, s[0:1]
	s_add_u32 s8, s8, s23
	s_addc_u32 s9, s9, 0
	v_add_u32_e32 v0, s20, v0
	s_add_u32 s18, s18, s23
	s_addc_u32 s19, s19, 0
	v_cmp_le_i32_e32 vcc, s21, v0
	v_add_u32_e32 v2, 15, v21
	s_or_b64 s[4:5], vcc, s[4:5]
	v_add_u32_e32 v21, s22, v21
	global_store_byte v2, v3, s[2:3]
	s_andn2_b64 exec, exec, s[4:5]
	s_cbranch_execz .LBB20_285
.LBB20_29:                              ; =>This Inner Loop Header: Depth=1
	v_mov_b32_e32 v2, s19
	v_add_co_u32_e32 v22, vcc, s18, v20
	v_addc_co_u32_e32 v23, vcc, 0, v2, vcc
	v_mov_b32_e32 v2, s9
	v_add_co_u32_e32 v28, vcc, s8, v20
	v_addc_co_u32_e32 v29, vcc, 0, v2, vcc
	global_load_dwordx4 v[14:17], v[22:23], off
	global_load_dwordx4 v[10:13], v[28:29], off
	global_load_dwordx4 v[6:9], v[22:23], off offset:16
	global_load_dwordx4 v[2:5], v[28:29], off offset:16
	v_mov_b32_e32 v31, v19
	s_waitcnt vmcnt(3)
	v_lshlrev_b32_e32 v18, 16, v14
	v_mul_f32_e32 v18, v1, v18
	v_bfe_u32 v23, v18, 16, 1
	v_add3_u32 v23, v18, v23, s24
	v_and_b32_e32 v23, 0xffff0000, v23
	v_cmp_o_f32_e32 vcc, v18, v18
	s_waitcnt vmcnt(2)
	v_lshlrev_b32_e32 v22, 16, v10
	v_cndmask_b32_e32 v18, v25, v23, vcc
	v_mul_f32_e32 v18, v18, v22
	v_bfe_u32 v22, v18, 16, 1
	v_add3_u32 v22, v18, v22, s24
	v_and_b32_e32 v22, 0xffff0000, v22
	v_cmp_o_f32_e32 vcc, v18, v18
	v_cndmask_b32_e32 v18, v25, v22, vcc
	v_mul_f32_e32 v18, v24, v18
	v_min_f32_e32 v18, 0x43e00000, v18
	v_max_f32_e32 v22, 0xc3e00000, v18
	v_and_b32_sdwa v28, v22, s25 dst_sel:DWORD dst_unused:UNUSED_PAD src0_sel:BYTE_3 src1_sel:DWORD
	v_and_b32_e32 v30, 0x7f800000, v22
	v_and_b32_e32 v18, 0x7fffff, v22
	v_or_b32_e32 v23, 0x7e, v28
	v_cmp_ne_u64_e32 vcc, s[6:7], v[30:31]
	s_and_saveexec_b64 s[0:1], vcc
	s_xor_b64 s[12:13], exec, s[0:1]
	s_cbranch_execz .LBB20_43
; %bb.30:                               ;   in Loop: Header=BB20_29 Depth=1
	v_and_b32_e32 v30, 0x7fffffff, v22
	v_mov_b32_e32 v31, v19
	v_cmp_gt_u64_e32 vcc, s[10:11], v[30:31]
	s_and_saveexec_b64 s[0:1], vcc
	s_xor_b64 s[14:15], exec, s[0:1]
	s_cbranch_execz .LBB20_42
; %bb.31:                               ;   in Loop: Header=BB20_29 Depth=1
	v_cmp_ne_u32_e32 vcc, 0, v22
	v_mov_b32_e32 v23, 0
	s_and_saveexec_b64 s[16:17], vcc
	s_cbranch_execz .LBB20_41
; %bb.32:                               ;   in Loop: Header=BB20_29 Depth=1
	v_bfe_u32 v22, v22, 23, 8
	v_sub_u32_e64 v23, s26, v22 clamp
	v_cmp_eq_u32_e32 vcc, 0, v22
	v_cndmask_b32_e32 v33, v23, v26, vcc
	v_add_u32_e32 v32, 0xffffff88, v22
	v_add_u32_e32 v22, 20, v33
	v_or_b32_e32 v29, 0x800000, v18
	v_lshlrev_b64 v[22:23], v22, -1
	v_cndmask_b32_e32 v18, v29, v18, vcc
	v_not_b32_e32 v23, v23
	v_not_b32_e32 v22, v22
	v_add_u32_e32 v29, 19, v33
	v_and_b32_e32 v23, 0, v23
	v_and_b32_e32 v22, v18, v22
	v_lshlrev_b64 v[30:31], v29, 1
	v_cmp_eq_u64_e64 s[0:1], v[22:23], v[30:31]
	v_lshrrev_b64 v[22:23], v33, v[18:19]
	v_cndmask_b32_e32 v18, v32, v27, vcc
	v_lshrrev_b32_e32 v29, 23, v22
	v_add3_u32 v29, v18, v33, v29
	v_and_b32_e32 v18, 0x100000, v22
	v_cmp_eq_u64_e32 vcc, 0, v[18:19]
	s_and_b64 vcc, vcc, s[0:1]
	v_subbrev_co_u32_e32 v18, vcc, 0, v22, vcc
	v_and_b32_e32 v18, 0xfffff, v18
	v_add_co_u32_e32 v22, vcc, v18, v22
	v_add_u32_e32 v30, -1, v29
	v_addc_co_u32_e32 v23, vcc, 0, v23, vcc
	v_cmp_ne_u32_e32 vcc, 0, v30
                                        ; implicit-def: $vgpr18
	s_and_saveexec_b64 s[0:1], vcc
	s_xor_b64 s[0:1], exec, s[0:1]
; %bb.33:                               ;   in Loop: Header=BB20_29 Depth=1
	v_and_b32_e32 v18, 0x1000000, v22
	v_cmp_eq_u64_e32 vcc, 0, v[18:19]
	v_cndmask_b32_e32 v18, v29, v30, vcc
	v_bfe_u32 v29, v22, 24, 1
	v_lshrrev_b64 v[22:23], v29, v[22:23]
; %bb.34:                               ;   in Loop: Header=BB20_29 Depth=1
	s_andn2_saveexec_b64 s[0:1], s[0:1]
; %bb.35:                               ;   in Loop: Header=BB20_29 Depth=1
	v_bfe_u32 v18, v22, 23, 1
; %bb.36:                               ;   in Loop: Header=BB20_29 Depth=1
	s_or_b64 exec, exec, s[0:1]
	v_lshrrev_b64 v[22:23], 20, v[22:23]
	v_cmp_gt_i32_e32 vcc, 16, v18
	v_cndmask_b32_e32 v23, 0, v23, vcc
	v_cndmask_b32_e32 v22, 7, v22, vcc
	v_cmp_ne_u32_e32 vcc, 0, v18
	v_cmp_ne_u64_e64 s[0:1], 0, v[22:23]
	s_or_b64 s[0:1], vcc, s[0:1]
                                        ; implicit-def: $vgpr23
	s_and_saveexec_b64 s[28:29], s[0:1]
	s_xor_b64 s[0:1], exec, s[28:29]
; %bb.37:                               ;   in Loop: Header=BB20_29 Depth=1
	v_min_i32_e32 v18, 15, v18
	v_lshl_or_b32 v18, v18, 3, v28
	v_and_or_b32 v23, v22, 7, v18
                                        ; implicit-def: $vgpr28
; %bb.38:                               ;   in Loop: Header=BB20_29 Depth=1
	s_andn2_saveexec_b64 s[0:1], s[0:1]
; %bb.39:                               ;   in Loop: Header=BB20_29 Depth=1
	v_mov_b32_e32 v23, v28
; %bb.40:                               ;   in Loop: Header=BB20_29 Depth=1
	s_or_b64 exec, exec, s[0:1]
.LBB20_41:                              ;   in Loop: Header=BB20_29 Depth=1
	s_or_b64 exec, exec, s[16:17]
.LBB20_42:                              ;   in Loop: Header=BB20_29 Depth=1
	s_andn2_saveexec_b64 s[0:1], s[14:15]
	s_or_b64 exec, exec, s[0:1]
                                        ; implicit-def: $vgpr22
.LBB20_43:                              ;   in Loop: Header=BB20_29 Depth=1
	s_andn2_saveexec_b64 s[0:1], s[12:13]
; %bb.44:                               ;   in Loop: Header=BB20_29 Depth=1
	v_or_b32_sdwa v22, v22, s27 dst_sel:DWORD dst_unused:UNUSED_PAD src0_sel:BYTE_3 src1_sel:DWORD
	v_cmp_eq_u64_e32 vcc, 0, v[18:19]
	v_cndmask_b32_e32 v23, v22, v23, vcc
; %bb.45:                               ;   in Loop: Header=BB20_29 Depth=1
	s_or_b64 exec, exec, s[0:1]
	v_and_b32_e32 v14, 0xffff0000, v14
	v_mul_f32_e32 v14, v1, v14
	v_bfe_u32 v18, v14, 16, 1
	v_add3_u32 v18, v14, v18, s24
	v_and_b32_e32 v18, 0xffff0000, v18
	v_cmp_o_f32_e32 vcc, v14, v14
	v_cndmask_b32_e32 v14, v25, v18, vcc
	v_and_b32_e32 v10, 0xffff0000, v10
	v_mul_f32_e32 v10, v14, v10
	v_bfe_u32 v14, v10, 16, 1
	v_add3_u32 v14, v10, v14, s24
	v_and_b32_e32 v14, 0xffff0000, v14
	v_cmp_o_f32_e32 vcc, v10, v10
	v_cndmask_b32_e32 v10, v25, v14, vcc
	v_mul_f32_e32 v10, v24, v10
	v_min_f32_e32 v10, 0x43e00000, v10
	v_max_f32_e32 v22, 0xc3e00000, v10
	v_and_b32_sdwa v10, v22, s25 dst_sel:DWORD dst_unused:UNUSED_PAD src0_sel:BYTE_3 src1_sel:DWORD
	v_and_b32_e32 v28, 0x7f800000, v22
	v_mov_b32_e32 v29, v19
	v_and_b32_e32 v18, 0x7fffff, v22
	v_or_b32_e32 v14, 0x7e, v10
	v_cmp_ne_u64_e32 vcc, s[6:7], v[28:29]
	global_store_byte v21, v23, s[2:3]
	s_and_saveexec_b64 s[0:1], vcc
	s_xor_b64 s[12:13], exec, s[0:1]
	s_cbranch_execz .LBB20_59
; %bb.46:                               ;   in Loop: Header=BB20_29 Depth=1
	v_and_b32_e32 v28, 0x7fffffff, v22
	v_mov_b32_e32 v29, v19
	v_cmp_gt_u64_e32 vcc, s[10:11], v[28:29]
	s_and_saveexec_b64 s[0:1], vcc
	s_xor_b64 s[14:15], exec, s[0:1]
	s_cbranch_execz .LBB20_58
; %bb.47:                               ;   in Loop: Header=BB20_29 Depth=1
	v_cmp_ne_u32_e32 vcc, 0, v22
	v_mov_b32_e32 v14, 0
	s_and_saveexec_b64 s[16:17], vcc
	s_cbranch_execz .LBB20_57
; %bb.48:                               ;   in Loop: Header=BB20_29 Depth=1
	v_bfe_u32 v14, v22, 23, 8
	v_sub_u32_e64 v22, s26, v14 clamp
	v_cmp_eq_u32_e32 vcc, 0, v14
	v_add_u32_e32 v30, 0xffffff88, v14
	v_cndmask_b32_e32 v14, v22, v26, vcc
	v_or_b32_e32 v23, 0x800000, v18
	v_add_u32_e32 v22, 20, v14
	v_cndmask_b32_e32 v18, v23, v18, vcc
	v_lshlrev_b64 v[22:23], v22, -1
	v_not_b32_e32 v23, v23
	v_not_b32_e32 v22, v22
	v_add_u32_e32 v28, 19, v14
	v_and_b32_e32 v23, 0, v23
	v_and_b32_e32 v22, v18, v22
	v_lshlrev_b64 v[28:29], v28, 1
	v_cmp_eq_u64_e64 s[0:1], v[22:23], v[28:29]
	v_lshrrev_b64 v[22:23], v14, v[18:19]
	v_cndmask_b32_e32 v18, v30, v27, vcc
	v_lshrrev_b32_e32 v28, 23, v22
	v_add3_u32 v14, v18, v14, v28
	v_and_b32_e32 v18, 0x100000, v22
	v_cmp_eq_u64_e32 vcc, 0, v[18:19]
	s_and_b64 vcc, vcc, s[0:1]
	v_subbrev_co_u32_e32 v18, vcc, 0, v22, vcc
	v_and_b32_e32 v18, 0xfffff, v18
	v_add_co_u32_e32 v22, vcc, v18, v22
	v_add_u32_e32 v28, -1, v14
	v_addc_co_u32_e32 v23, vcc, 0, v23, vcc
	v_cmp_ne_u32_e32 vcc, 0, v28
                                        ; implicit-def: $vgpr18
	s_and_saveexec_b64 s[0:1], vcc
	s_xor_b64 s[0:1], exec, s[0:1]
; %bb.49:                               ;   in Loop: Header=BB20_29 Depth=1
	v_and_b32_e32 v18, 0x1000000, v22
	v_cmp_eq_u64_e32 vcc, 0, v[18:19]
	v_cndmask_b32_e32 v18, v14, v28, vcc
	v_bfe_u32 v14, v22, 24, 1
	v_lshrrev_b64 v[22:23], v14, v[22:23]
; %bb.50:                               ;   in Loop: Header=BB20_29 Depth=1
	s_andn2_saveexec_b64 s[0:1], s[0:1]
; %bb.51:                               ;   in Loop: Header=BB20_29 Depth=1
	v_bfe_u32 v18, v22, 23, 1
; %bb.52:                               ;   in Loop: Header=BB20_29 Depth=1
	s_or_b64 exec, exec, s[0:1]
	v_lshrrev_b64 v[22:23], 20, v[22:23]
	v_cmp_gt_i32_e32 vcc, 16, v18
	v_cndmask_b32_e32 v23, 0, v23, vcc
	v_cndmask_b32_e32 v22, 7, v22, vcc
	v_cmp_ne_u32_e32 vcc, 0, v18
	v_cmp_ne_u64_e64 s[0:1], 0, v[22:23]
	s_or_b64 s[0:1], vcc, s[0:1]
                                        ; implicit-def: $vgpr14
	s_and_saveexec_b64 s[28:29], s[0:1]
	s_xor_b64 s[0:1], exec, s[28:29]
; %bb.53:                               ;   in Loop: Header=BB20_29 Depth=1
	v_min_i32_e32 v14, 15, v18
	v_lshl_or_b32 v10, v14, 3, v10
	v_and_or_b32 v14, v22, 7, v10
                                        ; implicit-def: $vgpr10
; %bb.54:                               ;   in Loop: Header=BB20_29 Depth=1
	s_andn2_saveexec_b64 s[0:1], s[0:1]
; %bb.55:                               ;   in Loop: Header=BB20_29 Depth=1
	v_mov_b32_e32 v14, v10
; %bb.56:                               ;   in Loop: Header=BB20_29 Depth=1
	s_or_b64 exec, exec, s[0:1]
.LBB20_57:                              ;   in Loop: Header=BB20_29 Depth=1
	s_or_b64 exec, exec, s[16:17]
.LBB20_58:                              ;   in Loop: Header=BB20_29 Depth=1
	s_andn2_saveexec_b64 s[0:1], s[14:15]
	s_or_b64 exec, exec, s[0:1]
                                        ; implicit-def: $vgpr22
.LBB20_59:                              ;   in Loop: Header=BB20_29 Depth=1
	s_andn2_saveexec_b64 s[0:1], s[12:13]
; %bb.60:                               ;   in Loop: Header=BB20_29 Depth=1
	v_or_b32_sdwa v10, v22, s27 dst_sel:DWORD dst_unused:UNUSED_PAD src0_sel:BYTE_3 src1_sel:DWORD
	v_cmp_eq_u64_e32 vcc, 0, v[18:19]
	v_cndmask_b32_e32 v14, v10, v14, vcc
; %bb.61:                               ;   in Loop: Header=BB20_29 Depth=1
	s_or_b64 exec, exec, s[0:1]
	v_add_u32_e32 v10, 1, v21
	global_store_byte v10, v14, s[2:3]
	v_lshlrev_b32_e32 v10, 16, v15
	v_mul_f32_e32 v10, v1, v10
	v_bfe_u32 v14, v10, 16, 1
	v_add3_u32 v14, v10, v14, s24
	v_and_b32_e32 v14, 0xffff0000, v14
	v_cmp_o_f32_e32 vcc, v10, v10
	v_cndmask_b32_e32 v10, v25, v14, vcc
	v_lshlrev_b32_e32 v14, 16, v11
	v_mul_f32_e32 v10, v10, v14
	v_bfe_u32 v14, v10, 16, 1
	v_add3_u32 v14, v10, v14, s24
	v_and_b32_e32 v14, 0xffff0000, v14
	v_cmp_o_f32_e32 vcc, v10, v10
	v_cndmask_b32_e32 v10, v25, v14, vcc
	v_mul_f32_e32 v10, v24, v10
	v_min_f32_e32 v10, 0x43e00000, v10
	v_max_f32_e32 v22, 0xc3e00000, v10
	v_and_b32_sdwa v10, v22, s25 dst_sel:DWORD dst_unused:UNUSED_PAD src0_sel:BYTE_3 src1_sel:DWORD
	v_and_b32_e32 v28, 0x7f800000, v22
	v_mov_b32_e32 v29, v19
	v_and_b32_e32 v18, 0x7fffff, v22
	v_or_b32_e32 v14, 0x7e, v10
	v_cmp_ne_u64_e32 vcc, s[6:7], v[28:29]
	s_and_saveexec_b64 s[0:1], vcc
	s_xor_b64 s[12:13], exec, s[0:1]
	s_cbranch_execz .LBB20_75
; %bb.62:                               ;   in Loop: Header=BB20_29 Depth=1
	v_and_b32_e32 v28, 0x7fffffff, v22
	v_mov_b32_e32 v29, v19
	v_cmp_gt_u64_e32 vcc, s[10:11], v[28:29]
	s_and_saveexec_b64 s[0:1], vcc
	s_xor_b64 s[14:15], exec, s[0:1]
	s_cbranch_execz .LBB20_74
; %bb.63:                               ;   in Loop: Header=BB20_29 Depth=1
	v_cmp_ne_u32_e32 vcc, 0, v22
	v_mov_b32_e32 v14, 0
	s_and_saveexec_b64 s[16:17], vcc
	s_cbranch_execz .LBB20_73
; %bb.64:                               ;   in Loop: Header=BB20_29 Depth=1
	v_bfe_u32 v14, v22, 23, 8
	v_sub_u32_e64 v22, s26, v14 clamp
	v_cmp_eq_u32_e32 vcc, 0, v14
	v_add_u32_e32 v30, 0xffffff88, v14
	v_cndmask_b32_e32 v14, v22, v26, vcc
	v_or_b32_e32 v23, 0x800000, v18
	v_add_u32_e32 v22, 20, v14
	v_cndmask_b32_e32 v18, v23, v18, vcc
	v_lshlrev_b64 v[22:23], v22, -1
	v_not_b32_e32 v23, v23
	v_not_b32_e32 v22, v22
	v_add_u32_e32 v28, 19, v14
	v_and_b32_e32 v23, 0, v23
	v_and_b32_e32 v22, v18, v22
	v_lshlrev_b64 v[28:29], v28, 1
	v_cmp_eq_u64_e64 s[0:1], v[22:23], v[28:29]
	v_lshrrev_b64 v[22:23], v14, v[18:19]
	v_cndmask_b32_e32 v18, v30, v27, vcc
	v_lshrrev_b32_e32 v28, 23, v22
	v_add3_u32 v14, v18, v14, v28
	v_and_b32_e32 v18, 0x100000, v22
	v_cmp_eq_u64_e32 vcc, 0, v[18:19]
	s_and_b64 vcc, vcc, s[0:1]
	v_subbrev_co_u32_e32 v18, vcc, 0, v22, vcc
	v_and_b32_e32 v18, 0xfffff, v18
	v_add_co_u32_e32 v22, vcc, v18, v22
	v_add_u32_e32 v28, -1, v14
	v_addc_co_u32_e32 v23, vcc, 0, v23, vcc
	v_cmp_ne_u32_e32 vcc, 0, v28
                                        ; implicit-def: $vgpr18
	s_and_saveexec_b64 s[0:1], vcc
	s_xor_b64 s[0:1], exec, s[0:1]
; %bb.65:                               ;   in Loop: Header=BB20_29 Depth=1
	v_and_b32_e32 v18, 0x1000000, v22
	v_cmp_eq_u64_e32 vcc, 0, v[18:19]
	v_cndmask_b32_e32 v18, v14, v28, vcc
	v_bfe_u32 v14, v22, 24, 1
	v_lshrrev_b64 v[22:23], v14, v[22:23]
; %bb.66:                               ;   in Loop: Header=BB20_29 Depth=1
	s_andn2_saveexec_b64 s[0:1], s[0:1]
; %bb.67:                               ;   in Loop: Header=BB20_29 Depth=1
	v_bfe_u32 v18, v22, 23, 1
; %bb.68:                               ;   in Loop: Header=BB20_29 Depth=1
	s_or_b64 exec, exec, s[0:1]
	v_lshrrev_b64 v[22:23], 20, v[22:23]
	v_cmp_gt_i32_e32 vcc, 16, v18
	v_cndmask_b32_e32 v23, 0, v23, vcc
	v_cndmask_b32_e32 v22, 7, v22, vcc
	v_cmp_ne_u32_e32 vcc, 0, v18
	v_cmp_ne_u64_e64 s[0:1], 0, v[22:23]
	s_or_b64 s[0:1], vcc, s[0:1]
                                        ; implicit-def: $vgpr14
	s_and_saveexec_b64 s[28:29], s[0:1]
	s_xor_b64 s[0:1], exec, s[28:29]
; %bb.69:                               ;   in Loop: Header=BB20_29 Depth=1
	v_min_i32_e32 v14, 15, v18
	v_lshl_or_b32 v10, v14, 3, v10
	v_and_or_b32 v14, v22, 7, v10
                                        ; implicit-def: $vgpr10
; %bb.70:                               ;   in Loop: Header=BB20_29 Depth=1
	s_andn2_saveexec_b64 s[0:1], s[0:1]
; %bb.71:                               ;   in Loop: Header=BB20_29 Depth=1
	v_mov_b32_e32 v14, v10
; %bb.72:                               ;   in Loop: Header=BB20_29 Depth=1
	s_or_b64 exec, exec, s[0:1]
.LBB20_73:                              ;   in Loop: Header=BB20_29 Depth=1
	s_or_b64 exec, exec, s[16:17]
.LBB20_74:                              ;   in Loop: Header=BB20_29 Depth=1
	s_andn2_saveexec_b64 s[0:1], s[14:15]
	s_or_b64 exec, exec, s[0:1]
                                        ; implicit-def: $vgpr22
.LBB20_75:                              ;   in Loop: Header=BB20_29 Depth=1
	s_andn2_saveexec_b64 s[0:1], s[12:13]
; %bb.76:                               ;   in Loop: Header=BB20_29 Depth=1
	v_or_b32_sdwa v10, v22, s27 dst_sel:DWORD dst_unused:UNUSED_PAD src0_sel:BYTE_3 src1_sel:DWORD
	v_cmp_eq_u64_e32 vcc, 0, v[18:19]
	v_cndmask_b32_e32 v14, v10, v14, vcc
; %bb.77:                               ;   in Loop: Header=BB20_29 Depth=1
	s_or_b64 exec, exec, s[0:1]
	v_add_u32_e32 v10, 2, v21
	global_store_byte v10, v14, s[2:3]
	v_and_b32_e32 v10, 0xffff0000, v15
	v_mul_f32_e32 v10, v1, v10
	v_bfe_u32 v14, v10, 16, 1
	v_add3_u32 v14, v10, v14, s24
	v_and_b32_e32 v14, 0xffff0000, v14
	v_cmp_o_f32_e32 vcc, v10, v10
	v_cndmask_b32_e32 v10, v25, v14, vcc
	v_and_b32_e32 v11, 0xffff0000, v11
	v_mul_f32_e32 v10, v10, v11
	v_bfe_u32 v11, v10, 16, 1
	v_add3_u32 v11, v10, v11, s24
	v_and_b32_e32 v11, 0xffff0000, v11
	v_cmp_o_f32_e32 vcc, v10, v10
	v_cndmask_b32_e32 v10, v25, v11, vcc
	v_mul_f32_e32 v10, v24, v10
	v_min_f32_e32 v10, 0x43e00000, v10
	v_max_f32_e32 v10, 0xc3e00000, v10
	v_and_b32_sdwa v14, v10, s25 dst_sel:DWORD dst_unused:UNUSED_PAD src0_sel:BYTE_3 src1_sel:DWORD
	v_and_b32_e32 v22, 0x7f800000, v10
	v_mov_b32_e32 v23, v19
	v_and_b32_e32 v18, 0x7fffff, v10
	v_or_b32_e32 v11, 0x7e, v14
	v_cmp_ne_u64_e32 vcc, s[6:7], v[22:23]
	s_and_saveexec_b64 s[0:1], vcc
	s_xor_b64 s[12:13], exec, s[0:1]
	s_cbranch_execz .LBB20_91
; %bb.78:                               ;   in Loop: Header=BB20_29 Depth=1
	v_and_b32_e32 v22, 0x7fffffff, v10
	v_mov_b32_e32 v23, v19
	v_cmp_gt_u64_e32 vcc, s[10:11], v[22:23]
	s_and_saveexec_b64 s[0:1], vcc
	s_xor_b64 s[14:15], exec, s[0:1]
	s_cbranch_execz .LBB20_90
; %bb.79:                               ;   in Loop: Header=BB20_29 Depth=1
	v_cmp_ne_u32_e32 vcc, 0, v10
	v_mov_b32_e32 v11, 0
	s_and_saveexec_b64 s[16:17], vcc
	s_cbranch_execz .LBB20_89
; %bb.80:                               ;   in Loop: Header=BB20_29 Depth=1
	v_bfe_u32 v10, v10, 23, 8
	v_sub_u32_e64 v11, s26, v10 clamp
	v_cmp_eq_u32_e32 vcc, 0, v10
	v_cndmask_b32_e32 v29, v11, v26, vcc
	v_add_u32_e32 v28, 0xffffff88, v10
	v_add_u32_e32 v10, 20, v29
	v_or_b32_e32 v15, 0x800000, v18
	v_lshlrev_b64 v[10:11], v10, -1
	v_cndmask_b32_e32 v18, v15, v18, vcc
	v_not_b32_e32 v11, v11
	v_not_b32_e32 v10, v10
	v_add_u32_e32 v15, 19, v29
	v_and_b32_e32 v11, 0, v11
	v_and_b32_e32 v10, v18, v10
	v_lshlrev_b64 v[22:23], v15, 1
	v_cmp_eq_u64_e64 s[0:1], v[10:11], v[22:23]
	v_lshrrev_b64 v[10:11], v29, v[18:19]
	v_cndmask_b32_e32 v15, v28, v27, vcc
	v_lshrrev_b32_e32 v18, 23, v10
	v_add3_u32 v22, v15, v29, v18
	v_and_b32_e32 v18, 0x100000, v10
	v_cmp_eq_u64_e32 vcc, 0, v[18:19]
	s_and_b64 vcc, vcc, s[0:1]
	v_subbrev_co_u32_e32 v15, vcc, 0, v10, vcc
	v_and_b32_e32 v15, 0xfffff, v15
	v_add_co_u32_e32 v10, vcc, v15, v10
	v_add_u32_e32 v23, -1, v22
	v_addc_co_u32_e32 v11, vcc, 0, v11, vcc
	v_cmp_ne_u32_e32 vcc, 0, v23
                                        ; implicit-def: $vgpr15
	s_and_saveexec_b64 s[0:1], vcc
	s_xor_b64 s[0:1], exec, s[0:1]
; %bb.81:                               ;   in Loop: Header=BB20_29 Depth=1
	v_and_b32_e32 v18, 0x1000000, v10
	v_cmp_eq_u64_e32 vcc, 0, v[18:19]
	v_bfe_u32 v18, v10, 24, 1
	v_cndmask_b32_e32 v15, v22, v23, vcc
	v_lshrrev_b64 v[10:11], v18, v[10:11]
; %bb.82:                               ;   in Loop: Header=BB20_29 Depth=1
	s_andn2_saveexec_b64 s[0:1], s[0:1]
; %bb.83:                               ;   in Loop: Header=BB20_29 Depth=1
	v_bfe_u32 v15, v10, 23, 1
; %bb.84:                               ;   in Loop: Header=BB20_29 Depth=1
	s_or_b64 exec, exec, s[0:1]
	v_lshrrev_b64 v[10:11], 20, v[10:11]
	v_cmp_gt_i32_e32 vcc, 16, v15
	v_cndmask_b32_e32 v11, 0, v11, vcc
	v_cndmask_b32_e32 v10, 7, v10, vcc
	v_cmp_ne_u32_e32 vcc, 0, v15
	v_cmp_ne_u64_e64 s[0:1], 0, v[10:11]
	s_or_b64 s[0:1], vcc, s[0:1]
                                        ; implicit-def: $vgpr11
	s_and_saveexec_b64 s[28:29], s[0:1]
	s_xor_b64 s[0:1], exec, s[28:29]
; %bb.85:                               ;   in Loop: Header=BB20_29 Depth=1
	v_min_i32_e32 v11, 15, v15
	v_lshl_or_b32 v11, v11, 3, v14
	v_and_or_b32 v11, v10, 7, v11
                                        ; implicit-def: $vgpr14
; %bb.86:                               ;   in Loop: Header=BB20_29 Depth=1
	s_andn2_saveexec_b64 s[0:1], s[0:1]
; %bb.87:                               ;   in Loop: Header=BB20_29 Depth=1
	v_mov_b32_e32 v11, v14
; %bb.88:                               ;   in Loop: Header=BB20_29 Depth=1
	s_or_b64 exec, exec, s[0:1]
.LBB20_89:                              ;   in Loop: Header=BB20_29 Depth=1
	s_or_b64 exec, exec, s[16:17]
.LBB20_90:                              ;   in Loop: Header=BB20_29 Depth=1
	s_andn2_saveexec_b64 s[0:1], s[14:15]
	s_or_b64 exec, exec, s[0:1]
                                        ; implicit-def: $vgpr10
.LBB20_91:                              ;   in Loop: Header=BB20_29 Depth=1
	s_andn2_saveexec_b64 s[0:1], s[12:13]
; %bb.92:                               ;   in Loop: Header=BB20_29 Depth=1
	v_or_b32_sdwa v10, v10, s27 dst_sel:DWORD dst_unused:UNUSED_PAD src0_sel:BYTE_3 src1_sel:DWORD
	v_cmp_eq_u64_e32 vcc, 0, v[18:19]
	v_cndmask_b32_e32 v11, v10, v11, vcc
; %bb.93:                               ;   in Loop: Header=BB20_29 Depth=1
	s_or_b64 exec, exec, s[0:1]
	v_add_u32_e32 v10, 3, v21
	global_store_byte v10, v11, s[2:3]
	v_lshlrev_b32_e32 v10, 16, v16
	v_mul_f32_e32 v10, v1, v10
	v_bfe_u32 v11, v10, 16, 1
	v_add3_u32 v11, v10, v11, s24
	v_and_b32_e32 v11, 0xffff0000, v11
	v_cmp_o_f32_e32 vcc, v10, v10
	v_cndmask_b32_e32 v10, v25, v11, vcc
	v_lshlrev_b32_e32 v11, 16, v12
	v_mul_f32_e32 v10, v10, v11
	v_bfe_u32 v11, v10, 16, 1
	v_add3_u32 v11, v10, v11, s24
	v_and_b32_e32 v11, 0xffff0000, v11
	v_cmp_o_f32_e32 vcc, v10, v10
	v_cndmask_b32_e32 v10, v25, v11, vcc
	v_mul_f32_e32 v10, v24, v10
	v_min_f32_e32 v10, 0x43e00000, v10
	v_max_f32_e32 v10, 0xc3e00000, v10
	v_and_b32_sdwa v14, v10, s25 dst_sel:DWORD dst_unused:UNUSED_PAD src0_sel:BYTE_3 src1_sel:DWORD
	v_and_b32_e32 v22, 0x7f800000, v10
	v_mov_b32_e32 v23, v19
	v_and_b32_e32 v18, 0x7fffff, v10
	v_or_b32_e32 v11, 0x7e, v14
	v_cmp_ne_u64_e32 vcc, s[6:7], v[22:23]
	s_and_saveexec_b64 s[0:1], vcc
	s_xor_b64 s[12:13], exec, s[0:1]
	s_cbranch_execz .LBB20_107
; %bb.94:                               ;   in Loop: Header=BB20_29 Depth=1
	v_and_b32_e32 v22, 0x7fffffff, v10
	v_mov_b32_e32 v23, v19
	v_cmp_gt_u64_e32 vcc, s[10:11], v[22:23]
	s_and_saveexec_b64 s[0:1], vcc
	s_xor_b64 s[14:15], exec, s[0:1]
	s_cbranch_execz .LBB20_106
; %bb.95:                               ;   in Loop: Header=BB20_29 Depth=1
	v_cmp_ne_u32_e32 vcc, 0, v10
	v_mov_b32_e32 v11, 0
	s_and_saveexec_b64 s[16:17], vcc
	s_cbranch_execz .LBB20_105
; %bb.96:                               ;   in Loop: Header=BB20_29 Depth=1
	v_bfe_u32 v10, v10, 23, 8
	v_sub_u32_e64 v11, s26, v10 clamp
	v_cmp_eq_u32_e32 vcc, 0, v10
	v_cndmask_b32_e32 v29, v11, v26, vcc
	v_add_u32_e32 v28, 0xffffff88, v10
	v_add_u32_e32 v10, 20, v29
	v_or_b32_e32 v15, 0x800000, v18
	v_lshlrev_b64 v[10:11], v10, -1
	v_cndmask_b32_e32 v18, v15, v18, vcc
	v_not_b32_e32 v11, v11
	v_not_b32_e32 v10, v10
	v_add_u32_e32 v15, 19, v29
	v_and_b32_e32 v11, 0, v11
	v_and_b32_e32 v10, v18, v10
	v_lshlrev_b64 v[22:23], v15, 1
	v_cmp_eq_u64_e64 s[0:1], v[10:11], v[22:23]
	v_lshrrev_b64 v[10:11], v29, v[18:19]
	v_cndmask_b32_e32 v15, v28, v27, vcc
	v_lshrrev_b32_e32 v18, 23, v10
	v_add3_u32 v22, v15, v29, v18
	v_and_b32_e32 v18, 0x100000, v10
	v_cmp_eq_u64_e32 vcc, 0, v[18:19]
	s_and_b64 vcc, vcc, s[0:1]
	v_subbrev_co_u32_e32 v15, vcc, 0, v10, vcc
	v_and_b32_e32 v15, 0xfffff, v15
	v_add_co_u32_e32 v10, vcc, v15, v10
	v_add_u32_e32 v23, -1, v22
	v_addc_co_u32_e32 v11, vcc, 0, v11, vcc
	v_cmp_ne_u32_e32 vcc, 0, v23
                                        ; implicit-def: $vgpr15
	s_and_saveexec_b64 s[0:1], vcc
	s_xor_b64 s[0:1], exec, s[0:1]
; %bb.97:                               ;   in Loop: Header=BB20_29 Depth=1
	v_and_b32_e32 v18, 0x1000000, v10
	v_cmp_eq_u64_e32 vcc, 0, v[18:19]
	v_bfe_u32 v18, v10, 24, 1
	v_cndmask_b32_e32 v15, v22, v23, vcc
	v_lshrrev_b64 v[10:11], v18, v[10:11]
; %bb.98:                               ;   in Loop: Header=BB20_29 Depth=1
	s_andn2_saveexec_b64 s[0:1], s[0:1]
; %bb.99:                               ;   in Loop: Header=BB20_29 Depth=1
	v_bfe_u32 v15, v10, 23, 1
; %bb.100:                              ;   in Loop: Header=BB20_29 Depth=1
	s_or_b64 exec, exec, s[0:1]
	v_lshrrev_b64 v[10:11], 20, v[10:11]
	v_cmp_gt_i32_e32 vcc, 16, v15
	v_cndmask_b32_e32 v11, 0, v11, vcc
	v_cndmask_b32_e32 v10, 7, v10, vcc
	v_cmp_ne_u32_e32 vcc, 0, v15
	v_cmp_ne_u64_e64 s[0:1], 0, v[10:11]
	s_or_b64 s[0:1], vcc, s[0:1]
                                        ; implicit-def: $vgpr11
	s_and_saveexec_b64 s[28:29], s[0:1]
	s_xor_b64 s[0:1], exec, s[28:29]
; %bb.101:                              ;   in Loop: Header=BB20_29 Depth=1
	v_min_i32_e32 v11, 15, v15
	v_lshl_or_b32 v11, v11, 3, v14
	v_and_or_b32 v11, v10, 7, v11
                                        ; implicit-def: $vgpr14
; %bb.102:                              ;   in Loop: Header=BB20_29 Depth=1
	s_andn2_saveexec_b64 s[0:1], s[0:1]
; %bb.103:                              ;   in Loop: Header=BB20_29 Depth=1
	v_mov_b32_e32 v11, v14
; %bb.104:                              ;   in Loop: Header=BB20_29 Depth=1
	s_or_b64 exec, exec, s[0:1]
.LBB20_105:                             ;   in Loop: Header=BB20_29 Depth=1
	s_or_b64 exec, exec, s[16:17]
.LBB20_106:                             ;   in Loop: Header=BB20_29 Depth=1
	s_andn2_saveexec_b64 s[0:1], s[14:15]
	s_or_b64 exec, exec, s[0:1]
                                        ; implicit-def: $vgpr10
.LBB20_107:                             ;   in Loop: Header=BB20_29 Depth=1
	s_andn2_saveexec_b64 s[0:1], s[12:13]
; %bb.108:                              ;   in Loop: Header=BB20_29 Depth=1
	v_or_b32_sdwa v10, v10, s27 dst_sel:DWORD dst_unused:UNUSED_PAD src0_sel:BYTE_3 src1_sel:DWORD
	v_cmp_eq_u64_e32 vcc, 0, v[18:19]
	v_cndmask_b32_e32 v11, v10, v11, vcc
; %bb.109:                              ;   in Loop: Header=BB20_29 Depth=1
	s_or_b64 exec, exec, s[0:1]
	v_add_u32_e32 v10, 4, v21
	global_store_byte v10, v11, s[2:3]
	v_and_b32_e32 v10, 0xffff0000, v16
	v_mul_f32_e32 v10, v1, v10
	v_bfe_u32 v11, v10, 16, 1
	v_add3_u32 v11, v10, v11, s24
	v_and_b32_e32 v11, 0xffff0000, v11
	v_cmp_o_f32_e32 vcc, v10, v10
	v_cndmask_b32_e32 v10, v25, v11, vcc
	v_and_b32_e32 v11, 0xffff0000, v12
	v_mul_f32_e32 v10, v10, v11
	v_bfe_u32 v11, v10, 16, 1
	v_add3_u32 v11, v10, v11, s24
	v_and_b32_e32 v11, 0xffff0000, v11
	v_cmp_o_f32_e32 vcc, v10, v10
	v_cndmask_b32_e32 v10, v25, v11, vcc
	v_mul_f32_e32 v10, v24, v10
	v_min_f32_e32 v10, 0x43e00000, v10
	v_max_f32_e32 v10, 0xc3e00000, v10
	v_and_b32_sdwa v12, v10, s25 dst_sel:DWORD dst_unused:UNUSED_PAD src0_sel:BYTE_3 src1_sel:DWORD
	v_and_b32_e32 v14, 0x7f800000, v10
	v_mov_b32_e32 v15, v19
	v_and_b32_e32 v18, 0x7fffff, v10
	v_or_b32_e32 v11, 0x7e, v12
	v_cmp_ne_u64_e32 vcc, s[6:7], v[14:15]
	s_and_saveexec_b64 s[0:1], vcc
	s_xor_b64 s[12:13], exec, s[0:1]
	s_cbranch_execz .LBB20_123
; %bb.110:                              ;   in Loop: Header=BB20_29 Depth=1
	v_and_b32_e32 v14, 0x7fffffff, v10
	v_mov_b32_e32 v15, v19
	v_cmp_gt_u64_e32 vcc, s[10:11], v[14:15]
	s_and_saveexec_b64 s[0:1], vcc
	s_xor_b64 s[14:15], exec, s[0:1]
	s_cbranch_execz .LBB20_122
; %bb.111:                              ;   in Loop: Header=BB20_29 Depth=1
	v_cmp_ne_u32_e32 vcc, 0, v10
	v_mov_b32_e32 v11, 0
	s_and_saveexec_b64 s[16:17], vcc
	s_cbranch_execz .LBB20_121
; %bb.112:                              ;   in Loop: Header=BB20_29 Depth=1
	v_bfe_u32 v10, v10, 23, 8
	v_sub_u32_e64 v11, s26, v10 clamp
	v_cmp_eq_u32_e32 vcc, 0, v10
	v_cndmask_b32_e32 v22, v11, v26, vcc
	v_add_u32_e32 v16, 0xffffff88, v10
	v_add_u32_e32 v10, 20, v22
	v_or_b32_e32 v14, 0x800000, v18
	v_lshlrev_b64 v[10:11], v10, -1
	v_cndmask_b32_e32 v18, v14, v18, vcc
	v_not_b32_e32 v11, v11
	v_not_b32_e32 v10, v10
	v_add_u32_e32 v14, 19, v22
	v_and_b32_e32 v11, 0, v11
	v_and_b32_e32 v10, v18, v10
	v_lshlrev_b64 v[14:15], v14, 1
	v_cmp_eq_u64_e64 s[0:1], v[10:11], v[14:15]
	v_lshrrev_b64 v[10:11], v22, v[18:19]
	v_and_b32_e32 v18, 0x100000, v10
	v_cndmask_b32_e32 v14, v16, v27, vcc
	v_cmp_eq_u64_e32 vcc, 0, v[18:19]
	v_lshrrev_b32_e32 v15, 23, v10
	s_and_b64 vcc, vcc, s[0:1]
	v_add3_u32 v15, v14, v22, v15
	v_subbrev_co_u32_e32 v14, vcc, 0, v10, vcc
	v_and_b32_e32 v14, 0xfffff, v14
	v_add_co_u32_e32 v10, vcc, v14, v10
	v_add_u32_e32 v16, -1, v15
	v_addc_co_u32_e32 v11, vcc, 0, v11, vcc
	v_cmp_ne_u32_e32 vcc, 0, v16
                                        ; implicit-def: $vgpr14
	s_and_saveexec_b64 s[0:1], vcc
	s_xor_b64 s[0:1], exec, s[0:1]
; %bb.113:                              ;   in Loop: Header=BB20_29 Depth=1
	v_and_b32_e32 v18, 0x1000000, v10
	v_cmp_eq_u64_e32 vcc, 0, v[18:19]
	v_cndmask_b32_e32 v14, v15, v16, vcc
	v_bfe_u32 v15, v10, 24, 1
	v_lshrrev_b64 v[10:11], v15, v[10:11]
; %bb.114:                              ;   in Loop: Header=BB20_29 Depth=1
	s_andn2_saveexec_b64 s[0:1], s[0:1]
; %bb.115:                              ;   in Loop: Header=BB20_29 Depth=1
	v_bfe_u32 v14, v10, 23, 1
; %bb.116:                              ;   in Loop: Header=BB20_29 Depth=1
	s_or_b64 exec, exec, s[0:1]
	v_lshrrev_b64 v[10:11], 20, v[10:11]
	v_cmp_gt_i32_e32 vcc, 16, v14
	v_cndmask_b32_e32 v11, 0, v11, vcc
	v_cndmask_b32_e32 v10, 7, v10, vcc
	v_cmp_ne_u32_e32 vcc, 0, v14
	v_cmp_ne_u64_e64 s[0:1], 0, v[10:11]
	s_or_b64 s[0:1], vcc, s[0:1]
                                        ; implicit-def: $vgpr11
	s_and_saveexec_b64 s[28:29], s[0:1]
	s_xor_b64 s[0:1], exec, s[28:29]
; %bb.117:                              ;   in Loop: Header=BB20_29 Depth=1
	v_min_i32_e32 v11, 15, v14
	v_lshl_or_b32 v11, v11, 3, v12
	v_and_or_b32 v11, v10, 7, v11
                                        ; implicit-def: $vgpr12
; %bb.118:                              ;   in Loop: Header=BB20_29 Depth=1
	s_andn2_saveexec_b64 s[0:1], s[0:1]
; %bb.119:                              ;   in Loop: Header=BB20_29 Depth=1
	v_mov_b32_e32 v11, v12
; %bb.120:                              ;   in Loop: Header=BB20_29 Depth=1
	s_or_b64 exec, exec, s[0:1]
.LBB20_121:                             ;   in Loop: Header=BB20_29 Depth=1
	s_or_b64 exec, exec, s[16:17]
.LBB20_122:                             ;   in Loop: Header=BB20_29 Depth=1
	s_andn2_saveexec_b64 s[0:1], s[14:15]
	s_or_b64 exec, exec, s[0:1]
                                        ; implicit-def: $vgpr10
.LBB20_123:                             ;   in Loop: Header=BB20_29 Depth=1
	s_andn2_saveexec_b64 s[0:1], s[12:13]
; %bb.124:                              ;   in Loop: Header=BB20_29 Depth=1
	v_or_b32_sdwa v10, v10, s27 dst_sel:DWORD dst_unused:UNUSED_PAD src0_sel:BYTE_3 src1_sel:DWORD
	v_cmp_eq_u64_e32 vcc, 0, v[18:19]
	v_cndmask_b32_e32 v11, v10, v11, vcc
; %bb.125:                              ;   in Loop: Header=BB20_29 Depth=1
	s_or_b64 exec, exec, s[0:1]
	v_add_u32_e32 v10, 5, v21
	global_store_byte v10, v11, s[2:3]
	v_lshlrev_b32_e32 v10, 16, v17
	v_mul_f32_e32 v10, v1, v10
	v_bfe_u32 v11, v10, 16, 1
	v_add3_u32 v11, v10, v11, s24
	v_and_b32_e32 v11, 0xffff0000, v11
	v_cmp_o_f32_e32 vcc, v10, v10
	v_cndmask_b32_e32 v10, v25, v11, vcc
	v_lshlrev_b32_e32 v11, 16, v13
	v_mul_f32_e32 v10, v10, v11
	v_bfe_u32 v11, v10, 16, 1
	v_add3_u32 v11, v10, v11, s24
	v_and_b32_e32 v11, 0xffff0000, v11
	v_cmp_o_f32_e32 vcc, v10, v10
	v_cndmask_b32_e32 v10, v25, v11, vcc
	v_mul_f32_e32 v10, v24, v10
	v_min_f32_e32 v10, 0x43e00000, v10
	v_max_f32_e32 v10, 0xc3e00000, v10
	v_and_b32_sdwa v12, v10, s25 dst_sel:DWORD dst_unused:UNUSED_PAD src0_sel:BYTE_3 src1_sel:DWORD
	v_and_b32_e32 v14, 0x7f800000, v10
	v_mov_b32_e32 v15, v19
	v_and_b32_e32 v18, 0x7fffff, v10
	v_or_b32_e32 v11, 0x7e, v12
	v_cmp_ne_u64_e32 vcc, s[6:7], v[14:15]
	s_and_saveexec_b64 s[0:1], vcc
	s_xor_b64 s[12:13], exec, s[0:1]
	s_cbranch_execz .LBB20_139
; %bb.126:                              ;   in Loop: Header=BB20_29 Depth=1
	v_and_b32_e32 v14, 0x7fffffff, v10
	v_mov_b32_e32 v15, v19
	v_cmp_gt_u64_e32 vcc, s[10:11], v[14:15]
	s_and_saveexec_b64 s[0:1], vcc
	s_xor_b64 s[14:15], exec, s[0:1]
	s_cbranch_execz .LBB20_138
; %bb.127:                              ;   in Loop: Header=BB20_29 Depth=1
	v_cmp_ne_u32_e32 vcc, 0, v10
	v_mov_b32_e32 v11, 0
	s_and_saveexec_b64 s[16:17], vcc
	s_cbranch_execz .LBB20_137
; %bb.128:                              ;   in Loop: Header=BB20_29 Depth=1
	v_bfe_u32 v10, v10, 23, 8
	v_sub_u32_e64 v11, s26, v10 clamp
	v_cmp_eq_u32_e32 vcc, 0, v10
	v_cndmask_b32_e32 v22, v11, v26, vcc
	v_add_u32_e32 v16, 0xffffff88, v10
	v_add_u32_e32 v10, 20, v22
	v_or_b32_e32 v14, 0x800000, v18
	v_lshlrev_b64 v[10:11], v10, -1
	v_cndmask_b32_e32 v18, v14, v18, vcc
	v_not_b32_e32 v11, v11
	v_not_b32_e32 v10, v10
	v_add_u32_e32 v14, 19, v22
	v_and_b32_e32 v11, 0, v11
	v_and_b32_e32 v10, v18, v10
	v_lshlrev_b64 v[14:15], v14, 1
	v_cmp_eq_u64_e64 s[0:1], v[10:11], v[14:15]
	v_lshrrev_b64 v[10:11], v22, v[18:19]
	v_and_b32_e32 v18, 0x100000, v10
	v_cndmask_b32_e32 v14, v16, v27, vcc
	v_cmp_eq_u64_e32 vcc, 0, v[18:19]
	v_lshrrev_b32_e32 v15, 23, v10
	s_and_b64 vcc, vcc, s[0:1]
	v_add3_u32 v15, v14, v22, v15
	v_subbrev_co_u32_e32 v14, vcc, 0, v10, vcc
	v_and_b32_e32 v14, 0xfffff, v14
	v_add_co_u32_e32 v10, vcc, v14, v10
	v_add_u32_e32 v16, -1, v15
	v_addc_co_u32_e32 v11, vcc, 0, v11, vcc
	v_cmp_ne_u32_e32 vcc, 0, v16
                                        ; implicit-def: $vgpr14
	s_and_saveexec_b64 s[0:1], vcc
	s_xor_b64 s[0:1], exec, s[0:1]
; %bb.129:                              ;   in Loop: Header=BB20_29 Depth=1
	v_and_b32_e32 v18, 0x1000000, v10
	v_cmp_eq_u64_e32 vcc, 0, v[18:19]
	v_cndmask_b32_e32 v14, v15, v16, vcc
	v_bfe_u32 v15, v10, 24, 1
	v_lshrrev_b64 v[10:11], v15, v[10:11]
; %bb.130:                              ;   in Loop: Header=BB20_29 Depth=1
	s_andn2_saveexec_b64 s[0:1], s[0:1]
; %bb.131:                              ;   in Loop: Header=BB20_29 Depth=1
	v_bfe_u32 v14, v10, 23, 1
; %bb.132:                              ;   in Loop: Header=BB20_29 Depth=1
	s_or_b64 exec, exec, s[0:1]
	v_lshrrev_b64 v[10:11], 20, v[10:11]
	v_cmp_gt_i32_e32 vcc, 16, v14
	v_cndmask_b32_e32 v11, 0, v11, vcc
	v_cndmask_b32_e32 v10, 7, v10, vcc
	v_cmp_ne_u32_e32 vcc, 0, v14
	v_cmp_ne_u64_e64 s[0:1], 0, v[10:11]
	s_or_b64 s[0:1], vcc, s[0:1]
                                        ; implicit-def: $vgpr11
	s_and_saveexec_b64 s[28:29], s[0:1]
	s_xor_b64 s[0:1], exec, s[28:29]
; %bb.133:                              ;   in Loop: Header=BB20_29 Depth=1
	v_min_i32_e32 v11, 15, v14
	v_lshl_or_b32 v11, v11, 3, v12
	v_and_or_b32 v11, v10, 7, v11
                                        ; implicit-def: $vgpr12
; %bb.134:                              ;   in Loop: Header=BB20_29 Depth=1
	s_andn2_saveexec_b64 s[0:1], s[0:1]
; %bb.135:                              ;   in Loop: Header=BB20_29 Depth=1
	v_mov_b32_e32 v11, v12
; %bb.136:                              ;   in Loop: Header=BB20_29 Depth=1
	s_or_b64 exec, exec, s[0:1]
.LBB20_137:                             ;   in Loop: Header=BB20_29 Depth=1
	s_or_b64 exec, exec, s[16:17]
.LBB20_138:                             ;   in Loop: Header=BB20_29 Depth=1
	s_andn2_saveexec_b64 s[0:1], s[14:15]
	s_or_b64 exec, exec, s[0:1]
                                        ; implicit-def: $vgpr10
.LBB20_139:                             ;   in Loop: Header=BB20_29 Depth=1
	s_andn2_saveexec_b64 s[0:1], s[12:13]
; %bb.140:                              ;   in Loop: Header=BB20_29 Depth=1
	v_or_b32_sdwa v10, v10, s27 dst_sel:DWORD dst_unused:UNUSED_PAD src0_sel:BYTE_3 src1_sel:DWORD
	v_cmp_eq_u64_e32 vcc, 0, v[18:19]
	v_cndmask_b32_e32 v11, v10, v11, vcc
; %bb.141:                              ;   in Loop: Header=BB20_29 Depth=1
	s_or_b64 exec, exec, s[0:1]
	v_add_u32_e32 v10, 6, v21
	global_store_byte v10, v11, s[2:3]
	v_and_b32_e32 v10, 0xffff0000, v17
	v_mul_f32_e32 v10, v1, v10
	v_bfe_u32 v11, v10, 16, 1
	v_add3_u32 v11, v10, v11, s24
	v_and_b32_e32 v11, 0xffff0000, v11
	v_cmp_o_f32_e32 vcc, v10, v10
	v_cndmask_b32_e32 v10, v25, v11, vcc
	v_and_b32_e32 v11, 0xffff0000, v13
	v_mul_f32_e32 v10, v10, v11
	v_bfe_u32 v11, v10, 16, 1
	v_add3_u32 v11, v10, v11, s24
	v_and_b32_e32 v11, 0xffff0000, v11
	v_cmp_o_f32_e32 vcc, v10, v10
	v_cndmask_b32_e32 v10, v25, v11, vcc
	v_mul_f32_e32 v10, v24, v10
	v_min_f32_e32 v10, 0x43e00000, v10
	v_max_f32_e32 v10, 0xc3e00000, v10
	v_and_b32_sdwa v12, v10, s25 dst_sel:DWORD dst_unused:UNUSED_PAD src0_sel:BYTE_3 src1_sel:DWORD
	v_and_b32_e32 v14, 0x7f800000, v10
	v_mov_b32_e32 v15, v19
	v_and_b32_e32 v18, 0x7fffff, v10
	v_or_b32_e32 v11, 0x7e, v12
	v_cmp_ne_u64_e32 vcc, s[6:7], v[14:15]
	s_and_saveexec_b64 s[0:1], vcc
	s_xor_b64 s[12:13], exec, s[0:1]
	s_cbranch_execz .LBB20_155
; %bb.142:                              ;   in Loop: Header=BB20_29 Depth=1
	v_and_b32_e32 v14, 0x7fffffff, v10
	v_mov_b32_e32 v15, v19
	v_cmp_gt_u64_e32 vcc, s[10:11], v[14:15]
	s_and_saveexec_b64 s[0:1], vcc
	s_xor_b64 s[14:15], exec, s[0:1]
	s_cbranch_execz .LBB20_154
; %bb.143:                              ;   in Loop: Header=BB20_29 Depth=1
	v_cmp_ne_u32_e32 vcc, 0, v10
	v_mov_b32_e32 v11, 0
	s_and_saveexec_b64 s[16:17], vcc
	s_cbranch_execz .LBB20_153
; %bb.144:                              ;   in Loop: Header=BB20_29 Depth=1
	v_bfe_u32 v10, v10, 23, 8
	v_sub_u32_e64 v11, s26, v10 clamp
	v_cmp_eq_u32_e32 vcc, 0, v10
	v_cndmask_b32_e32 v17, v11, v26, vcc
	v_add_u32_e32 v16, 0xffffff88, v10
	v_add_u32_e32 v10, 20, v17
	v_or_b32_e32 v13, 0x800000, v18
	v_lshlrev_b64 v[10:11], v10, -1
	v_cndmask_b32_e32 v18, v13, v18, vcc
	v_not_b32_e32 v11, v11
	v_not_b32_e32 v10, v10
	v_add_u32_e32 v13, 19, v17
	v_and_b32_e32 v11, 0, v11
	v_and_b32_e32 v10, v18, v10
	v_lshlrev_b64 v[14:15], v13, 1
	v_cmp_eq_u64_e64 s[0:1], v[10:11], v[14:15]
	v_lshrrev_b64 v[10:11], v17, v[18:19]
	v_and_b32_e32 v18, 0x100000, v10
	v_cndmask_b32_e32 v13, v16, v27, vcc
	v_cmp_eq_u64_e32 vcc, 0, v[18:19]
	v_lshrrev_b32_e32 v14, 23, v10
	s_and_b64 vcc, vcc, s[0:1]
	v_add3_u32 v14, v13, v17, v14
	v_subbrev_co_u32_e32 v13, vcc, 0, v10, vcc
	v_and_b32_e32 v13, 0xfffff, v13
	v_add_co_u32_e32 v10, vcc, v13, v10
	v_add_u32_e32 v15, -1, v14
	v_addc_co_u32_e32 v11, vcc, 0, v11, vcc
	v_cmp_ne_u32_e32 vcc, 0, v15
                                        ; implicit-def: $vgpr13
	s_and_saveexec_b64 s[0:1], vcc
	s_xor_b64 s[0:1], exec, s[0:1]
; %bb.145:                              ;   in Loop: Header=BB20_29 Depth=1
	v_and_b32_e32 v18, 0x1000000, v10
	v_cmp_eq_u64_e32 vcc, 0, v[18:19]
	v_cndmask_b32_e32 v13, v14, v15, vcc
	v_bfe_u32 v14, v10, 24, 1
	v_lshrrev_b64 v[10:11], v14, v[10:11]
; %bb.146:                              ;   in Loop: Header=BB20_29 Depth=1
	s_andn2_saveexec_b64 s[0:1], s[0:1]
; %bb.147:                              ;   in Loop: Header=BB20_29 Depth=1
	v_bfe_u32 v13, v10, 23, 1
; %bb.148:                              ;   in Loop: Header=BB20_29 Depth=1
	s_or_b64 exec, exec, s[0:1]
	v_lshrrev_b64 v[10:11], 20, v[10:11]
	v_cmp_gt_i32_e32 vcc, 16, v13
	v_cndmask_b32_e32 v11, 0, v11, vcc
	v_cndmask_b32_e32 v10, 7, v10, vcc
	v_cmp_ne_u32_e32 vcc, 0, v13
	v_cmp_ne_u64_e64 s[0:1], 0, v[10:11]
	s_or_b64 s[0:1], vcc, s[0:1]
                                        ; implicit-def: $vgpr11
	s_and_saveexec_b64 s[28:29], s[0:1]
	s_xor_b64 s[0:1], exec, s[28:29]
; %bb.149:                              ;   in Loop: Header=BB20_29 Depth=1
	v_min_i32_e32 v11, 15, v13
	v_lshl_or_b32 v11, v11, 3, v12
	v_and_or_b32 v11, v10, 7, v11
                                        ; implicit-def: $vgpr12
; %bb.150:                              ;   in Loop: Header=BB20_29 Depth=1
	s_andn2_saveexec_b64 s[0:1], s[0:1]
; %bb.151:                              ;   in Loop: Header=BB20_29 Depth=1
	v_mov_b32_e32 v11, v12
; %bb.152:                              ;   in Loop: Header=BB20_29 Depth=1
	s_or_b64 exec, exec, s[0:1]
.LBB20_153:                             ;   in Loop: Header=BB20_29 Depth=1
	s_or_b64 exec, exec, s[16:17]
.LBB20_154:                             ;   in Loop: Header=BB20_29 Depth=1
	s_andn2_saveexec_b64 s[0:1], s[14:15]
	s_or_b64 exec, exec, s[0:1]
                                        ; implicit-def: $vgpr10
.LBB20_155:                             ;   in Loop: Header=BB20_29 Depth=1
	s_andn2_saveexec_b64 s[0:1], s[12:13]
; %bb.156:                              ;   in Loop: Header=BB20_29 Depth=1
	v_or_b32_sdwa v10, v10, s27 dst_sel:DWORD dst_unused:UNUSED_PAD src0_sel:BYTE_3 src1_sel:DWORD
	v_cmp_eq_u64_e32 vcc, 0, v[18:19]
	v_cndmask_b32_e32 v11, v10, v11, vcc
; %bb.157:                              ;   in Loop: Header=BB20_29 Depth=1
	s_or_b64 exec, exec, s[0:1]
	v_add_u32_e32 v10, 7, v21
	global_store_byte v10, v11, s[2:3]
	s_waitcnt vmcnt(9)
	v_lshlrev_b32_e32 v10, 16, v6
	v_mul_f32_e32 v10, v1, v10
	v_bfe_u32 v11, v10, 16, 1
	v_add3_u32 v11, v10, v11, s24
	v_and_b32_e32 v11, 0xffff0000, v11
	v_cmp_o_f32_e32 vcc, v10, v10
	v_cndmask_b32_e32 v10, v25, v11, vcc
	s_waitcnt vmcnt(8)
	v_lshlrev_b32_e32 v11, 16, v2
	v_mul_f32_e32 v10, v10, v11
	v_bfe_u32 v11, v10, 16, 1
	v_add3_u32 v11, v10, v11, s24
	v_and_b32_e32 v11, 0xffff0000, v11
	v_cmp_o_f32_e32 vcc, v10, v10
	v_cndmask_b32_e32 v10, v25, v11, vcc
	v_mul_f32_e32 v10, v24, v10
	v_min_f32_e32 v10, 0x43e00000, v10
	v_max_f32_e32 v10, 0xc3e00000, v10
	v_and_b32_sdwa v12, v10, s25 dst_sel:DWORD dst_unused:UNUSED_PAD src0_sel:BYTE_3 src1_sel:DWORD
	v_and_b32_e32 v14, 0x7f800000, v10
	v_mov_b32_e32 v15, v19
	v_and_b32_e32 v18, 0x7fffff, v10
	v_or_b32_e32 v11, 0x7e, v12
	v_cmp_ne_u64_e32 vcc, s[6:7], v[14:15]
	s_and_saveexec_b64 s[0:1], vcc
	s_xor_b64 s[12:13], exec, s[0:1]
	s_cbranch_execz .LBB20_171
; %bb.158:                              ;   in Loop: Header=BB20_29 Depth=1
	v_and_b32_e32 v14, 0x7fffffff, v10
	v_mov_b32_e32 v15, v19
	v_cmp_gt_u64_e32 vcc, s[10:11], v[14:15]
	s_and_saveexec_b64 s[0:1], vcc
	s_xor_b64 s[14:15], exec, s[0:1]
	s_cbranch_execz .LBB20_170
; %bb.159:                              ;   in Loop: Header=BB20_29 Depth=1
	v_cmp_ne_u32_e32 vcc, 0, v10
	v_mov_b32_e32 v11, 0
	s_and_saveexec_b64 s[16:17], vcc
	s_cbranch_execz .LBB20_169
; %bb.160:                              ;   in Loop: Header=BB20_29 Depth=1
	v_bfe_u32 v10, v10, 23, 8
	v_sub_u32_e64 v11, s26, v10 clamp
	v_cmp_eq_u32_e32 vcc, 0, v10
	v_cndmask_b32_e32 v17, v11, v26, vcc
	v_add_u32_e32 v16, 0xffffff88, v10
	v_add_u32_e32 v10, 20, v17
	v_or_b32_e32 v13, 0x800000, v18
	v_lshlrev_b64 v[10:11], v10, -1
	v_cndmask_b32_e32 v18, v13, v18, vcc
	v_not_b32_e32 v11, v11
	v_not_b32_e32 v10, v10
	v_add_u32_e32 v13, 19, v17
	v_and_b32_e32 v11, 0, v11
	v_and_b32_e32 v10, v18, v10
	v_lshlrev_b64 v[14:15], v13, 1
	v_cmp_eq_u64_e64 s[0:1], v[10:11], v[14:15]
	v_lshrrev_b64 v[10:11], v17, v[18:19]
	v_and_b32_e32 v18, 0x100000, v10
	v_cndmask_b32_e32 v13, v16, v27, vcc
	v_cmp_eq_u64_e32 vcc, 0, v[18:19]
	v_lshrrev_b32_e32 v14, 23, v10
	s_and_b64 vcc, vcc, s[0:1]
	v_add3_u32 v14, v13, v17, v14
	v_subbrev_co_u32_e32 v13, vcc, 0, v10, vcc
	v_and_b32_e32 v13, 0xfffff, v13
	v_add_co_u32_e32 v10, vcc, v13, v10
	v_add_u32_e32 v15, -1, v14
	v_addc_co_u32_e32 v11, vcc, 0, v11, vcc
	v_cmp_ne_u32_e32 vcc, 0, v15
                                        ; implicit-def: $vgpr13
	s_and_saveexec_b64 s[0:1], vcc
	s_xor_b64 s[0:1], exec, s[0:1]
; %bb.161:                              ;   in Loop: Header=BB20_29 Depth=1
	v_and_b32_e32 v18, 0x1000000, v10
	v_cmp_eq_u64_e32 vcc, 0, v[18:19]
	v_cndmask_b32_e32 v13, v14, v15, vcc
	v_bfe_u32 v14, v10, 24, 1
	v_lshrrev_b64 v[10:11], v14, v[10:11]
; %bb.162:                              ;   in Loop: Header=BB20_29 Depth=1
	s_andn2_saveexec_b64 s[0:1], s[0:1]
; %bb.163:                              ;   in Loop: Header=BB20_29 Depth=1
	v_bfe_u32 v13, v10, 23, 1
; %bb.164:                              ;   in Loop: Header=BB20_29 Depth=1
	s_or_b64 exec, exec, s[0:1]
	v_lshrrev_b64 v[10:11], 20, v[10:11]
	v_cmp_gt_i32_e32 vcc, 16, v13
	v_cndmask_b32_e32 v11, 0, v11, vcc
	v_cndmask_b32_e32 v10, 7, v10, vcc
	v_cmp_ne_u32_e32 vcc, 0, v13
	v_cmp_ne_u64_e64 s[0:1], 0, v[10:11]
	s_or_b64 s[0:1], vcc, s[0:1]
                                        ; implicit-def: $vgpr11
	s_and_saveexec_b64 s[28:29], s[0:1]
	s_xor_b64 s[0:1], exec, s[28:29]
; %bb.165:                              ;   in Loop: Header=BB20_29 Depth=1
	v_min_i32_e32 v11, 15, v13
	v_lshl_or_b32 v11, v11, 3, v12
	v_and_or_b32 v11, v10, 7, v11
                                        ; implicit-def: $vgpr12
; %bb.166:                              ;   in Loop: Header=BB20_29 Depth=1
	s_andn2_saveexec_b64 s[0:1], s[0:1]
; %bb.167:                              ;   in Loop: Header=BB20_29 Depth=1
	v_mov_b32_e32 v11, v12
; %bb.168:                              ;   in Loop: Header=BB20_29 Depth=1
	s_or_b64 exec, exec, s[0:1]
.LBB20_169:                             ;   in Loop: Header=BB20_29 Depth=1
	s_or_b64 exec, exec, s[16:17]
.LBB20_170:                             ;   in Loop: Header=BB20_29 Depth=1
	s_andn2_saveexec_b64 s[0:1], s[14:15]
	s_or_b64 exec, exec, s[0:1]
                                        ; implicit-def: $vgpr10
.LBB20_171:                             ;   in Loop: Header=BB20_29 Depth=1
	s_andn2_saveexec_b64 s[0:1], s[12:13]
; %bb.172:                              ;   in Loop: Header=BB20_29 Depth=1
	v_or_b32_sdwa v10, v10, s27 dst_sel:DWORD dst_unused:UNUSED_PAD src0_sel:BYTE_3 src1_sel:DWORD
	v_cmp_eq_u64_e32 vcc, 0, v[18:19]
	v_cndmask_b32_e32 v11, v10, v11, vcc
; %bb.173:                              ;   in Loop: Header=BB20_29 Depth=1
	s_or_b64 exec, exec, s[0:1]
	v_and_b32_e32 v6, 0xffff0000, v6
	v_add_u32_e32 v10, 8, v21
	v_mul_f32_e32 v6, v1, v6
	global_store_byte v10, v11, s[2:3]
	v_bfe_u32 v10, v6, 16, 1
	v_add3_u32 v10, v6, v10, s24
	v_and_b32_e32 v10, 0xffff0000, v10
	v_cmp_o_f32_e32 vcc, v6, v6
	v_cndmask_b32_e32 v6, v25, v10, vcc
	v_and_b32_e32 v2, 0xffff0000, v2
	v_mul_f32_e32 v2, v6, v2
	v_bfe_u32 v6, v2, 16, 1
	v_add3_u32 v6, v2, v6, s24
	v_and_b32_e32 v6, 0xffff0000, v6
	v_cmp_o_f32_e32 vcc, v2, v2
	v_cndmask_b32_e32 v2, v25, v6, vcc
	v_mul_f32_e32 v2, v24, v2
	v_min_f32_e32 v2, 0x43e00000, v2
	v_max_f32_e32 v10, 0xc3e00000, v2
	v_and_b32_sdwa v2, v10, s25 dst_sel:DWORD dst_unused:UNUSED_PAD src0_sel:BYTE_3 src1_sel:DWORD
	v_and_b32_e32 v12, 0x7f800000, v10
	v_mov_b32_e32 v13, v19
	v_and_b32_e32 v18, 0x7fffff, v10
	v_or_b32_e32 v6, 0x7e, v2
	v_cmp_ne_u64_e32 vcc, s[6:7], v[12:13]
	s_and_saveexec_b64 s[0:1], vcc
	s_xor_b64 s[12:13], exec, s[0:1]
	s_cbranch_execz .LBB20_187
; %bb.174:                              ;   in Loop: Header=BB20_29 Depth=1
	v_and_b32_e32 v12, 0x7fffffff, v10
	v_mov_b32_e32 v13, v19
	v_cmp_gt_u64_e32 vcc, s[10:11], v[12:13]
	s_and_saveexec_b64 s[0:1], vcc
	s_xor_b64 s[14:15], exec, s[0:1]
	s_cbranch_execz .LBB20_186
; %bb.175:                              ;   in Loop: Header=BB20_29 Depth=1
	v_cmp_ne_u32_e32 vcc, 0, v10
	v_mov_b32_e32 v6, 0
	s_and_saveexec_b64 s[16:17], vcc
	s_cbranch_execz .LBB20_185
; %bb.176:                              ;   in Loop: Header=BB20_29 Depth=1
	v_bfe_u32 v6, v10, 23, 8
	v_sub_u32_e64 v10, s26, v6 clamp
	v_cmp_eq_u32_e32 vcc, 0, v6
	v_add_u32_e32 v14, 0xffffff88, v6
	v_cndmask_b32_e32 v6, v10, v26, vcc
	v_or_b32_e32 v11, 0x800000, v18
	v_add_u32_e32 v10, 20, v6
	v_cndmask_b32_e32 v18, v11, v18, vcc
	v_lshlrev_b64 v[10:11], v10, -1
	v_not_b32_e32 v11, v11
	v_not_b32_e32 v10, v10
	v_add_u32_e32 v12, 19, v6
	v_and_b32_e32 v11, 0, v11
	v_and_b32_e32 v10, v18, v10
	v_lshlrev_b64 v[12:13], v12, 1
	v_cmp_eq_u64_e64 s[0:1], v[10:11], v[12:13]
	v_lshrrev_b64 v[10:11], v6, v[18:19]
	v_and_b32_e32 v18, 0x100000, v10
	v_cndmask_b32_e32 v12, v14, v27, vcc
	v_cmp_eq_u64_e32 vcc, 0, v[18:19]
	v_lshrrev_b32_e32 v13, 23, v10
	s_and_b64 vcc, vcc, s[0:1]
	v_add3_u32 v6, v12, v6, v13
	v_subbrev_co_u32_e32 v12, vcc, 0, v10, vcc
	v_and_b32_e32 v12, 0xfffff, v12
	v_add_co_u32_e32 v10, vcc, v12, v10
	v_add_u32_e32 v13, -1, v6
	v_addc_co_u32_e32 v11, vcc, 0, v11, vcc
	v_cmp_ne_u32_e32 vcc, 0, v13
                                        ; implicit-def: $vgpr12
	s_and_saveexec_b64 s[0:1], vcc
	s_xor_b64 s[0:1], exec, s[0:1]
; %bb.177:                              ;   in Loop: Header=BB20_29 Depth=1
	v_and_b32_e32 v18, 0x1000000, v10
	v_cmp_eq_u64_e32 vcc, 0, v[18:19]
	v_cndmask_b32_e32 v12, v6, v13, vcc
	v_bfe_u32 v6, v10, 24, 1
	v_lshrrev_b64 v[10:11], v6, v[10:11]
; %bb.178:                              ;   in Loop: Header=BB20_29 Depth=1
	s_andn2_saveexec_b64 s[0:1], s[0:1]
; %bb.179:                              ;   in Loop: Header=BB20_29 Depth=1
	v_bfe_u32 v12, v10, 23, 1
; %bb.180:                              ;   in Loop: Header=BB20_29 Depth=1
	s_or_b64 exec, exec, s[0:1]
	v_lshrrev_b64 v[10:11], 20, v[10:11]
	v_cmp_gt_i32_e32 vcc, 16, v12
	v_cndmask_b32_e32 v11, 0, v11, vcc
	v_cndmask_b32_e32 v10, 7, v10, vcc
	v_cmp_ne_u32_e32 vcc, 0, v12
	v_cmp_ne_u64_e64 s[0:1], 0, v[10:11]
	s_or_b64 s[0:1], vcc, s[0:1]
                                        ; implicit-def: $vgpr6
	s_and_saveexec_b64 s[28:29], s[0:1]
	s_xor_b64 s[0:1], exec, s[28:29]
; %bb.181:                              ;   in Loop: Header=BB20_29 Depth=1
	v_min_i32_e32 v6, 15, v12
	v_lshl_or_b32 v2, v6, 3, v2
	v_and_or_b32 v6, v10, 7, v2
                                        ; implicit-def: $vgpr2
; %bb.182:                              ;   in Loop: Header=BB20_29 Depth=1
	s_andn2_saveexec_b64 s[0:1], s[0:1]
; %bb.183:                              ;   in Loop: Header=BB20_29 Depth=1
	v_mov_b32_e32 v6, v2
; %bb.184:                              ;   in Loop: Header=BB20_29 Depth=1
	s_or_b64 exec, exec, s[0:1]
.LBB20_185:                             ;   in Loop: Header=BB20_29 Depth=1
	s_or_b64 exec, exec, s[16:17]
.LBB20_186:                             ;   in Loop: Header=BB20_29 Depth=1
	s_andn2_saveexec_b64 s[0:1], s[14:15]
	s_or_b64 exec, exec, s[0:1]
                                        ; implicit-def: $vgpr10
.LBB20_187:                             ;   in Loop: Header=BB20_29 Depth=1
	s_andn2_saveexec_b64 s[0:1], s[12:13]
; %bb.188:                              ;   in Loop: Header=BB20_29 Depth=1
	v_or_b32_sdwa v2, v10, s27 dst_sel:DWORD dst_unused:UNUSED_PAD src0_sel:BYTE_3 src1_sel:DWORD
	v_cmp_eq_u64_e32 vcc, 0, v[18:19]
	v_cndmask_b32_e32 v6, v2, v6, vcc
; %bb.189:                              ;   in Loop: Header=BB20_29 Depth=1
	s_or_b64 exec, exec, s[0:1]
	v_add_u32_e32 v2, 9, v21
	global_store_byte v2, v6, s[2:3]
	v_lshlrev_b32_e32 v2, 16, v7
	v_mul_f32_e32 v2, v1, v2
	v_bfe_u32 v6, v2, 16, 1
	v_add3_u32 v6, v2, v6, s24
	v_and_b32_e32 v6, 0xffff0000, v6
	v_cmp_o_f32_e32 vcc, v2, v2
	v_cndmask_b32_e32 v2, v25, v6, vcc
	v_lshlrev_b32_e32 v6, 16, v3
	v_mul_f32_e32 v2, v2, v6
	v_bfe_u32 v6, v2, 16, 1
	v_add3_u32 v6, v2, v6, s24
	v_and_b32_e32 v6, 0xffff0000, v6
	v_cmp_o_f32_e32 vcc, v2, v2
	v_cndmask_b32_e32 v2, v25, v6, vcc
	v_mul_f32_e32 v2, v24, v2
	v_min_f32_e32 v2, 0x43e00000, v2
	v_max_f32_e32 v10, 0xc3e00000, v2
	v_and_b32_sdwa v2, v10, s25 dst_sel:DWORD dst_unused:UNUSED_PAD src0_sel:BYTE_3 src1_sel:DWORD
	v_and_b32_e32 v12, 0x7f800000, v10
	v_mov_b32_e32 v13, v19
	v_and_b32_e32 v18, 0x7fffff, v10
	v_or_b32_e32 v6, 0x7e, v2
	v_cmp_ne_u64_e32 vcc, s[6:7], v[12:13]
	s_and_saveexec_b64 s[0:1], vcc
	s_xor_b64 s[12:13], exec, s[0:1]
	s_cbranch_execz .LBB20_203
; %bb.190:                              ;   in Loop: Header=BB20_29 Depth=1
	v_and_b32_e32 v12, 0x7fffffff, v10
	v_mov_b32_e32 v13, v19
	v_cmp_gt_u64_e32 vcc, s[10:11], v[12:13]
	s_and_saveexec_b64 s[0:1], vcc
	s_xor_b64 s[14:15], exec, s[0:1]
	s_cbranch_execz .LBB20_202
; %bb.191:                              ;   in Loop: Header=BB20_29 Depth=1
	v_cmp_ne_u32_e32 vcc, 0, v10
	v_mov_b32_e32 v6, 0
	s_and_saveexec_b64 s[16:17], vcc
	s_cbranch_execz .LBB20_201
; %bb.192:                              ;   in Loop: Header=BB20_29 Depth=1
	v_bfe_u32 v6, v10, 23, 8
	v_sub_u32_e64 v10, s26, v6 clamp
	v_cmp_eq_u32_e32 vcc, 0, v6
	v_add_u32_e32 v14, 0xffffff88, v6
	v_cndmask_b32_e32 v6, v10, v26, vcc
	v_or_b32_e32 v11, 0x800000, v18
	v_add_u32_e32 v10, 20, v6
	v_cndmask_b32_e32 v18, v11, v18, vcc
	v_lshlrev_b64 v[10:11], v10, -1
	v_not_b32_e32 v11, v11
	v_not_b32_e32 v10, v10
	v_add_u32_e32 v12, 19, v6
	v_and_b32_e32 v11, 0, v11
	v_and_b32_e32 v10, v18, v10
	v_lshlrev_b64 v[12:13], v12, 1
	v_cmp_eq_u64_e64 s[0:1], v[10:11], v[12:13]
	v_lshrrev_b64 v[10:11], v6, v[18:19]
	v_and_b32_e32 v18, 0x100000, v10
	v_cndmask_b32_e32 v12, v14, v27, vcc
	v_cmp_eq_u64_e32 vcc, 0, v[18:19]
	v_lshrrev_b32_e32 v13, 23, v10
	s_and_b64 vcc, vcc, s[0:1]
	v_add3_u32 v6, v12, v6, v13
	v_subbrev_co_u32_e32 v12, vcc, 0, v10, vcc
	v_and_b32_e32 v12, 0xfffff, v12
	v_add_co_u32_e32 v10, vcc, v12, v10
	v_add_u32_e32 v13, -1, v6
	v_addc_co_u32_e32 v11, vcc, 0, v11, vcc
	v_cmp_ne_u32_e32 vcc, 0, v13
                                        ; implicit-def: $vgpr12
	s_and_saveexec_b64 s[0:1], vcc
	s_xor_b64 s[0:1], exec, s[0:1]
; %bb.193:                              ;   in Loop: Header=BB20_29 Depth=1
	v_and_b32_e32 v18, 0x1000000, v10
	v_cmp_eq_u64_e32 vcc, 0, v[18:19]
	v_cndmask_b32_e32 v12, v6, v13, vcc
	v_bfe_u32 v6, v10, 24, 1
	v_lshrrev_b64 v[10:11], v6, v[10:11]
; %bb.194:                              ;   in Loop: Header=BB20_29 Depth=1
	s_andn2_saveexec_b64 s[0:1], s[0:1]
; %bb.195:                              ;   in Loop: Header=BB20_29 Depth=1
	v_bfe_u32 v12, v10, 23, 1
; %bb.196:                              ;   in Loop: Header=BB20_29 Depth=1
	s_or_b64 exec, exec, s[0:1]
	v_lshrrev_b64 v[10:11], 20, v[10:11]
	v_cmp_gt_i32_e32 vcc, 16, v12
	v_cndmask_b32_e32 v11, 0, v11, vcc
	v_cndmask_b32_e32 v10, 7, v10, vcc
	v_cmp_ne_u32_e32 vcc, 0, v12
	v_cmp_ne_u64_e64 s[0:1], 0, v[10:11]
	s_or_b64 s[0:1], vcc, s[0:1]
                                        ; implicit-def: $vgpr6
	s_and_saveexec_b64 s[28:29], s[0:1]
	s_xor_b64 s[0:1], exec, s[28:29]
; %bb.197:                              ;   in Loop: Header=BB20_29 Depth=1
	v_min_i32_e32 v6, 15, v12
	v_lshl_or_b32 v2, v6, 3, v2
	v_and_or_b32 v6, v10, 7, v2
                                        ; implicit-def: $vgpr2
; %bb.198:                              ;   in Loop: Header=BB20_29 Depth=1
	s_andn2_saveexec_b64 s[0:1], s[0:1]
; %bb.199:                              ;   in Loop: Header=BB20_29 Depth=1
	v_mov_b32_e32 v6, v2
; %bb.200:                              ;   in Loop: Header=BB20_29 Depth=1
	s_or_b64 exec, exec, s[0:1]
.LBB20_201:                             ;   in Loop: Header=BB20_29 Depth=1
	s_or_b64 exec, exec, s[16:17]
.LBB20_202:                             ;   in Loop: Header=BB20_29 Depth=1
	s_andn2_saveexec_b64 s[0:1], s[14:15]
	s_or_b64 exec, exec, s[0:1]
                                        ; implicit-def: $vgpr10
.LBB20_203:                             ;   in Loop: Header=BB20_29 Depth=1
	s_andn2_saveexec_b64 s[0:1], s[12:13]
; %bb.204:                              ;   in Loop: Header=BB20_29 Depth=1
	v_or_b32_sdwa v2, v10, s27 dst_sel:DWORD dst_unused:UNUSED_PAD src0_sel:BYTE_3 src1_sel:DWORD
	v_cmp_eq_u64_e32 vcc, 0, v[18:19]
	v_cndmask_b32_e32 v6, v2, v6, vcc
; %bb.205:                              ;   in Loop: Header=BB20_29 Depth=1
	s_or_b64 exec, exec, s[0:1]
	v_add_u32_e32 v2, 10, v21
	global_store_byte v2, v6, s[2:3]
	v_and_b32_e32 v2, 0xffff0000, v7
	v_mul_f32_e32 v2, v1, v2
	v_bfe_u32 v6, v2, 16, 1
	v_add3_u32 v6, v2, v6, s24
	v_and_b32_e32 v6, 0xffff0000, v6
	v_cmp_o_f32_e32 vcc, v2, v2
	v_cndmask_b32_e32 v2, v25, v6, vcc
	v_and_b32_e32 v3, 0xffff0000, v3
	v_mul_f32_e32 v2, v2, v3
	v_bfe_u32 v3, v2, 16, 1
	v_add3_u32 v3, v2, v3, s24
	v_and_b32_e32 v3, 0xffff0000, v3
	v_cmp_o_f32_e32 vcc, v2, v2
	v_cndmask_b32_e32 v2, v25, v3, vcc
	v_mul_f32_e32 v2, v24, v2
	v_min_f32_e32 v2, 0x43e00000, v2
	v_max_f32_e32 v2, 0xc3e00000, v2
	v_and_b32_sdwa v6, v2, s25 dst_sel:DWORD dst_unused:UNUSED_PAD src0_sel:BYTE_3 src1_sel:DWORD
	v_and_b32_e32 v10, 0x7f800000, v2
	v_mov_b32_e32 v11, v19
	v_and_b32_e32 v18, 0x7fffff, v2
	v_or_b32_e32 v3, 0x7e, v6
	v_cmp_ne_u64_e32 vcc, s[6:7], v[10:11]
	s_and_saveexec_b64 s[0:1], vcc
	s_xor_b64 s[12:13], exec, s[0:1]
	s_cbranch_execz .LBB20_219
; %bb.206:                              ;   in Loop: Header=BB20_29 Depth=1
	v_and_b32_e32 v10, 0x7fffffff, v2
	v_mov_b32_e32 v11, v19
	v_cmp_gt_u64_e32 vcc, s[10:11], v[10:11]
	s_and_saveexec_b64 s[0:1], vcc
	s_xor_b64 s[14:15], exec, s[0:1]
	s_cbranch_execz .LBB20_218
; %bb.207:                              ;   in Loop: Header=BB20_29 Depth=1
	v_cmp_ne_u32_e32 vcc, 0, v2
	v_mov_b32_e32 v3, 0
	s_and_saveexec_b64 s[16:17], vcc
	s_cbranch_execz .LBB20_217
; %bb.208:                              ;   in Loop: Header=BB20_29 Depth=1
	v_bfe_u32 v2, v2, 23, 8
	v_sub_u32_e64 v3, s26, v2 clamp
	v_cmp_eq_u32_e32 vcc, 0, v2
	v_cndmask_b32_e32 v13, v3, v26, vcc
	v_add_u32_e32 v12, 0xffffff88, v2
	v_add_u32_e32 v2, 20, v13
	v_or_b32_e32 v7, 0x800000, v18
	v_lshlrev_b64 v[2:3], v2, -1
	v_cndmask_b32_e32 v18, v7, v18, vcc
	v_not_b32_e32 v3, v3
	v_not_b32_e32 v2, v2
	v_add_u32_e32 v7, 19, v13
	v_and_b32_e32 v3, 0, v3
	v_and_b32_e32 v2, v18, v2
	v_lshlrev_b64 v[10:11], v7, 1
	v_cmp_eq_u64_e64 s[0:1], v[2:3], v[10:11]
	v_lshrrev_b64 v[2:3], v13, v[18:19]
	v_and_b32_e32 v18, 0x100000, v2
	v_cndmask_b32_e32 v7, v12, v27, vcc
	v_cmp_eq_u64_e32 vcc, 0, v[18:19]
	v_lshrrev_b32_e32 v10, 23, v2
	s_and_b64 vcc, vcc, s[0:1]
	v_add3_u32 v10, v7, v13, v10
	v_subbrev_co_u32_e32 v7, vcc, 0, v2, vcc
	v_and_b32_e32 v7, 0xfffff, v7
	v_add_co_u32_e32 v2, vcc, v7, v2
	v_add_u32_e32 v11, -1, v10
	v_addc_co_u32_e32 v3, vcc, 0, v3, vcc
	v_cmp_ne_u32_e32 vcc, 0, v11
                                        ; implicit-def: $vgpr7
	s_and_saveexec_b64 s[0:1], vcc
	s_xor_b64 s[0:1], exec, s[0:1]
; %bb.209:                              ;   in Loop: Header=BB20_29 Depth=1
	v_and_b32_e32 v18, 0x1000000, v2
	v_cmp_eq_u64_e32 vcc, 0, v[18:19]
	v_cndmask_b32_e32 v7, v10, v11, vcc
	v_bfe_u32 v10, v2, 24, 1
	v_lshrrev_b64 v[2:3], v10, v[2:3]
; %bb.210:                              ;   in Loop: Header=BB20_29 Depth=1
	s_andn2_saveexec_b64 s[0:1], s[0:1]
; %bb.211:                              ;   in Loop: Header=BB20_29 Depth=1
	v_bfe_u32 v7, v2, 23, 1
; %bb.212:                              ;   in Loop: Header=BB20_29 Depth=1
	s_or_b64 exec, exec, s[0:1]
	v_lshrrev_b64 v[2:3], 20, v[2:3]
	v_cmp_gt_i32_e32 vcc, 16, v7
	v_cndmask_b32_e32 v3, 0, v3, vcc
	v_cndmask_b32_e32 v2, 7, v2, vcc
	v_cmp_ne_u32_e32 vcc, 0, v7
	v_cmp_ne_u64_e64 s[0:1], 0, v[2:3]
	s_or_b64 s[0:1], vcc, s[0:1]
                                        ; implicit-def: $vgpr3
	s_and_saveexec_b64 s[28:29], s[0:1]
	s_xor_b64 s[0:1], exec, s[28:29]
; %bb.213:                              ;   in Loop: Header=BB20_29 Depth=1
	v_min_i32_e32 v3, 15, v7
	v_lshl_or_b32 v3, v3, 3, v6
	v_and_or_b32 v3, v2, 7, v3
                                        ; implicit-def: $vgpr6
; %bb.214:                              ;   in Loop: Header=BB20_29 Depth=1
	s_andn2_saveexec_b64 s[0:1], s[0:1]
; %bb.215:                              ;   in Loop: Header=BB20_29 Depth=1
	v_mov_b32_e32 v3, v6
; %bb.216:                              ;   in Loop: Header=BB20_29 Depth=1
	s_or_b64 exec, exec, s[0:1]
.LBB20_217:                             ;   in Loop: Header=BB20_29 Depth=1
	s_or_b64 exec, exec, s[16:17]
.LBB20_218:                             ;   in Loop: Header=BB20_29 Depth=1
	s_andn2_saveexec_b64 s[0:1], s[14:15]
	s_or_b64 exec, exec, s[0:1]
                                        ; implicit-def: $vgpr2
.LBB20_219:                             ;   in Loop: Header=BB20_29 Depth=1
	s_andn2_saveexec_b64 s[0:1], s[12:13]
; %bb.220:                              ;   in Loop: Header=BB20_29 Depth=1
	v_or_b32_sdwa v2, v2, s27 dst_sel:DWORD dst_unused:UNUSED_PAD src0_sel:BYTE_3 src1_sel:DWORD
	v_cmp_eq_u64_e32 vcc, 0, v[18:19]
	v_cndmask_b32_e32 v3, v2, v3, vcc
; %bb.221:                              ;   in Loop: Header=BB20_29 Depth=1
	s_or_b64 exec, exec, s[0:1]
	v_add_u32_e32 v2, 11, v21
	global_store_byte v2, v3, s[2:3]
	v_lshlrev_b32_e32 v2, 16, v8
	v_mul_f32_e32 v2, v1, v2
	v_bfe_u32 v3, v2, 16, 1
	v_add3_u32 v3, v2, v3, s24
	v_and_b32_e32 v3, 0xffff0000, v3
	v_cmp_o_f32_e32 vcc, v2, v2
	v_cndmask_b32_e32 v2, v25, v3, vcc
	v_lshlrev_b32_e32 v3, 16, v4
	v_mul_f32_e32 v2, v2, v3
	v_bfe_u32 v3, v2, 16, 1
	v_add3_u32 v3, v2, v3, s24
	v_and_b32_e32 v3, 0xffff0000, v3
	v_cmp_o_f32_e32 vcc, v2, v2
	v_cndmask_b32_e32 v2, v25, v3, vcc
	v_mul_f32_e32 v2, v24, v2
	v_min_f32_e32 v2, 0x43e00000, v2
	v_max_f32_e32 v2, 0xc3e00000, v2
	v_and_b32_sdwa v6, v2, s25 dst_sel:DWORD dst_unused:UNUSED_PAD src0_sel:BYTE_3 src1_sel:DWORD
	v_and_b32_e32 v10, 0x7f800000, v2
	v_mov_b32_e32 v11, v19
	v_and_b32_e32 v18, 0x7fffff, v2
	v_or_b32_e32 v3, 0x7e, v6
	v_cmp_ne_u64_e32 vcc, s[6:7], v[10:11]
	s_and_saveexec_b64 s[0:1], vcc
	s_xor_b64 s[12:13], exec, s[0:1]
	s_cbranch_execz .LBB20_235
; %bb.222:                              ;   in Loop: Header=BB20_29 Depth=1
	v_and_b32_e32 v10, 0x7fffffff, v2
	v_mov_b32_e32 v11, v19
	v_cmp_gt_u64_e32 vcc, s[10:11], v[10:11]
	s_and_saveexec_b64 s[0:1], vcc
	s_xor_b64 s[14:15], exec, s[0:1]
	s_cbranch_execz .LBB20_234
; %bb.223:                              ;   in Loop: Header=BB20_29 Depth=1
	v_cmp_ne_u32_e32 vcc, 0, v2
	v_mov_b32_e32 v3, 0
	s_and_saveexec_b64 s[16:17], vcc
	s_cbranch_execz .LBB20_233
; %bb.224:                              ;   in Loop: Header=BB20_29 Depth=1
	v_bfe_u32 v2, v2, 23, 8
	v_sub_u32_e64 v3, s26, v2 clamp
	v_cmp_eq_u32_e32 vcc, 0, v2
	v_cndmask_b32_e32 v13, v3, v26, vcc
	v_add_u32_e32 v12, 0xffffff88, v2
	v_add_u32_e32 v2, 20, v13
	v_or_b32_e32 v7, 0x800000, v18
	v_lshlrev_b64 v[2:3], v2, -1
	v_cndmask_b32_e32 v18, v7, v18, vcc
	v_not_b32_e32 v3, v3
	v_not_b32_e32 v2, v2
	v_add_u32_e32 v7, 19, v13
	v_and_b32_e32 v3, 0, v3
	v_and_b32_e32 v2, v18, v2
	v_lshlrev_b64 v[10:11], v7, 1
	v_cmp_eq_u64_e64 s[0:1], v[2:3], v[10:11]
	v_lshrrev_b64 v[2:3], v13, v[18:19]
	v_and_b32_e32 v18, 0x100000, v2
	v_cndmask_b32_e32 v7, v12, v27, vcc
	v_cmp_eq_u64_e32 vcc, 0, v[18:19]
	v_lshrrev_b32_e32 v10, 23, v2
	s_and_b64 vcc, vcc, s[0:1]
	v_add3_u32 v10, v7, v13, v10
	v_subbrev_co_u32_e32 v7, vcc, 0, v2, vcc
	v_and_b32_e32 v7, 0xfffff, v7
	v_add_co_u32_e32 v2, vcc, v7, v2
	v_add_u32_e32 v11, -1, v10
	v_addc_co_u32_e32 v3, vcc, 0, v3, vcc
	v_cmp_ne_u32_e32 vcc, 0, v11
                                        ; implicit-def: $vgpr7
	s_and_saveexec_b64 s[0:1], vcc
	s_xor_b64 s[0:1], exec, s[0:1]
; %bb.225:                              ;   in Loop: Header=BB20_29 Depth=1
	v_and_b32_e32 v18, 0x1000000, v2
	v_cmp_eq_u64_e32 vcc, 0, v[18:19]
	v_cndmask_b32_e32 v7, v10, v11, vcc
	v_bfe_u32 v10, v2, 24, 1
	v_lshrrev_b64 v[2:3], v10, v[2:3]
; %bb.226:                              ;   in Loop: Header=BB20_29 Depth=1
	s_andn2_saveexec_b64 s[0:1], s[0:1]
; %bb.227:                              ;   in Loop: Header=BB20_29 Depth=1
	v_bfe_u32 v7, v2, 23, 1
; %bb.228:                              ;   in Loop: Header=BB20_29 Depth=1
	s_or_b64 exec, exec, s[0:1]
	v_lshrrev_b64 v[2:3], 20, v[2:3]
	v_cmp_gt_i32_e32 vcc, 16, v7
	v_cndmask_b32_e32 v3, 0, v3, vcc
	v_cndmask_b32_e32 v2, 7, v2, vcc
	v_cmp_ne_u32_e32 vcc, 0, v7
	v_cmp_ne_u64_e64 s[0:1], 0, v[2:3]
	s_or_b64 s[0:1], vcc, s[0:1]
                                        ; implicit-def: $vgpr3
	s_and_saveexec_b64 s[28:29], s[0:1]
	s_xor_b64 s[0:1], exec, s[28:29]
; %bb.229:                              ;   in Loop: Header=BB20_29 Depth=1
	v_min_i32_e32 v3, 15, v7
	v_lshl_or_b32 v3, v3, 3, v6
	v_and_or_b32 v3, v2, 7, v3
                                        ; implicit-def: $vgpr6
; %bb.230:                              ;   in Loop: Header=BB20_29 Depth=1
	s_andn2_saveexec_b64 s[0:1], s[0:1]
; %bb.231:                              ;   in Loop: Header=BB20_29 Depth=1
	v_mov_b32_e32 v3, v6
; %bb.232:                              ;   in Loop: Header=BB20_29 Depth=1
	s_or_b64 exec, exec, s[0:1]
.LBB20_233:                             ;   in Loop: Header=BB20_29 Depth=1
	s_or_b64 exec, exec, s[16:17]
.LBB20_234:                             ;   in Loop: Header=BB20_29 Depth=1
	s_andn2_saveexec_b64 s[0:1], s[14:15]
	s_or_b64 exec, exec, s[0:1]
                                        ; implicit-def: $vgpr2
.LBB20_235:                             ;   in Loop: Header=BB20_29 Depth=1
	s_andn2_saveexec_b64 s[0:1], s[12:13]
; %bb.236:                              ;   in Loop: Header=BB20_29 Depth=1
	v_or_b32_sdwa v2, v2, s27 dst_sel:DWORD dst_unused:UNUSED_PAD src0_sel:BYTE_3 src1_sel:DWORD
	v_cmp_eq_u64_e32 vcc, 0, v[18:19]
	v_cndmask_b32_e32 v3, v2, v3, vcc
; %bb.237:                              ;   in Loop: Header=BB20_29 Depth=1
	s_or_b64 exec, exec, s[0:1]
	v_add_u32_e32 v2, 12, v21
	global_store_byte v2, v3, s[2:3]
	v_and_b32_e32 v2, 0xffff0000, v8
	v_mul_f32_e32 v2, v1, v2
	v_bfe_u32 v3, v2, 16, 1
	v_add3_u32 v3, v2, v3, s24
	v_and_b32_e32 v3, 0xffff0000, v3
	v_cmp_o_f32_e32 vcc, v2, v2
	v_cndmask_b32_e32 v2, v25, v3, vcc
	v_and_b32_e32 v3, 0xffff0000, v4
	v_mul_f32_e32 v2, v2, v3
	v_bfe_u32 v3, v2, 16, 1
	v_add3_u32 v3, v2, v3, s24
	v_and_b32_e32 v3, 0xffff0000, v3
	v_cmp_o_f32_e32 vcc, v2, v2
	v_cndmask_b32_e32 v2, v25, v3, vcc
	v_mul_f32_e32 v2, v24, v2
	v_min_f32_e32 v2, 0x43e00000, v2
	v_max_f32_e32 v2, 0xc3e00000, v2
	v_and_b32_sdwa v4, v2, s25 dst_sel:DWORD dst_unused:UNUSED_PAD src0_sel:BYTE_3 src1_sel:DWORD
	v_and_b32_e32 v6, 0x7f800000, v2
	v_mov_b32_e32 v7, v19
	v_and_b32_e32 v18, 0x7fffff, v2
	v_or_b32_e32 v3, 0x7e, v4
	v_cmp_ne_u64_e32 vcc, s[6:7], v[6:7]
	s_and_saveexec_b64 s[0:1], vcc
	s_xor_b64 s[12:13], exec, s[0:1]
	s_cbranch_execz .LBB20_251
; %bb.238:                              ;   in Loop: Header=BB20_29 Depth=1
	v_and_b32_e32 v6, 0x7fffffff, v2
	v_mov_b32_e32 v7, v19
	v_cmp_gt_u64_e32 vcc, s[10:11], v[6:7]
	s_and_saveexec_b64 s[0:1], vcc
	s_xor_b64 s[14:15], exec, s[0:1]
	s_cbranch_execz .LBB20_250
; %bb.239:                              ;   in Loop: Header=BB20_29 Depth=1
	v_cmp_ne_u32_e32 vcc, 0, v2
	v_mov_b32_e32 v3, 0
	s_and_saveexec_b64 s[16:17], vcc
	s_cbranch_execz .LBB20_249
; %bb.240:                              ;   in Loop: Header=BB20_29 Depth=1
	v_bfe_u32 v2, v2, 23, 8
	v_sub_u32_e64 v3, s26, v2 clamp
	v_cmp_eq_u32_e32 vcc, 0, v2
	v_cndmask_b32_e32 v10, v3, v26, vcc
	v_add_u32_e32 v8, 0xffffff88, v2
	v_add_u32_e32 v2, 20, v10
	v_or_b32_e32 v6, 0x800000, v18
	v_lshlrev_b64 v[2:3], v2, -1
	v_cndmask_b32_e32 v18, v6, v18, vcc
	v_not_b32_e32 v3, v3
	v_not_b32_e32 v2, v2
	v_add_u32_e32 v6, 19, v10
	v_and_b32_e32 v3, 0, v3
	v_and_b32_e32 v2, v18, v2
	v_lshlrev_b64 v[6:7], v6, 1
	v_cmp_eq_u64_e64 s[0:1], v[2:3], v[6:7]
	v_lshrrev_b64 v[2:3], v10, v[18:19]
	v_and_b32_e32 v18, 0x100000, v2
	v_cndmask_b32_e32 v6, v8, v27, vcc
	v_cmp_eq_u64_e32 vcc, 0, v[18:19]
	v_lshrrev_b32_e32 v7, 23, v2
	s_and_b64 vcc, vcc, s[0:1]
	v_add3_u32 v7, v6, v10, v7
	v_subbrev_co_u32_e32 v6, vcc, 0, v2, vcc
	v_and_b32_e32 v6, 0xfffff, v6
	v_add_co_u32_e32 v2, vcc, v6, v2
	v_add_u32_e32 v8, -1, v7
	v_addc_co_u32_e32 v3, vcc, 0, v3, vcc
	v_cmp_ne_u32_e32 vcc, 0, v8
                                        ; implicit-def: $vgpr6
	s_and_saveexec_b64 s[0:1], vcc
	s_xor_b64 s[0:1], exec, s[0:1]
; %bb.241:                              ;   in Loop: Header=BB20_29 Depth=1
	v_and_b32_e32 v18, 0x1000000, v2
	v_cmp_eq_u64_e32 vcc, 0, v[18:19]
	v_cndmask_b32_e32 v6, v7, v8, vcc
	v_bfe_u32 v7, v2, 24, 1
	v_lshrrev_b64 v[2:3], v7, v[2:3]
; %bb.242:                              ;   in Loop: Header=BB20_29 Depth=1
	s_andn2_saveexec_b64 s[0:1], s[0:1]
; %bb.243:                              ;   in Loop: Header=BB20_29 Depth=1
	v_bfe_u32 v6, v2, 23, 1
; %bb.244:                              ;   in Loop: Header=BB20_29 Depth=1
	s_or_b64 exec, exec, s[0:1]
	v_lshrrev_b64 v[2:3], 20, v[2:3]
	v_cmp_gt_i32_e32 vcc, 16, v6
	v_cndmask_b32_e32 v3, 0, v3, vcc
	v_cndmask_b32_e32 v2, 7, v2, vcc
	v_cmp_ne_u32_e32 vcc, 0, v6
	v_cmp_ne_u64_e64 s[0:1], 0, v[2:3]
	s_or_b64 s[0:1], vcc, s[0:1]
                                        ; implicit-def: $vgpr3
	s_and_saveexec_b64 s[28:29], s[0:1]
	s_xor_b64 s[0:1], exec, s[28:29]
; %bb.245:                              ;   in Loop: Header=BB20_29 Depth=1
	v_min_i32_e32 v3, 15, v6
	v_lshl_or_b32 v3, v3, 3, v4
	v_and_or_b32 v3, v2, 7, v3
                                        ; implicit-def: $vgpr4
; %bb.246:                              ;   in Loop: Header=BB20_29 Depth=1
	s_andn2_saveexec_b64 s[0:1], s[0:1]
; %bb.247:                              ;   in Loop: Header=BB20_29 Depth=1
	v_mov_b32_e32 v3, v4
; %bb.248:                              ;   in Loop: Header=BB20_29 Depth=1
	s_or_b64 exec, exec, s[0:1]
.LBB20_249:                             ;   in Loop: Header=BB20_29 Depth=1
	s_or_b64 exec, exec, s[16:17]
.LBB20_250:                             ;   in Loop: Header=BB20_29 Depth=1
	s_andn2_saveexec_b64 s[0:1], s[14:15]
	s_or_b64 exec, exec, s[0:1]
                                        ; implicit-def: $vgpr2
.LBB20_251:                             ;   in Loop: Header=BB20_29 Depth=1
	s_andn2_saveexec_b64 s[0:1], s[12:13]
; %bb.252:                              ;   in Loop: Header=BB20_29 Depth=1
	v_or_b32_sdwa v2, v2, s27 dst_sel:DWORD dst_unused:UNUSED_PAD src0_sel:BYTE_3 src1_sel:DWORD
	v_cmp_eq_u64_e32 vcc, 0, v[18:19]
	v_cndmask_b32_e32 v3, v2, v3, vcc
; %bb.253:                              ;   in Loop: Header=BB20_29 Depth=1
	s_or_b64 exec, exec, s[0:1]
	v_add_u32_e32 v2, 13, v21
	global_store_byte v2, v3, s[2:3]
	v_lshlrev_b32_e32 v2, 16, v9
	v_mul_f32_e32 v2, v1, v2
	v_bfe_u32 v3, v2, 16, 1
	v_add3_u32 v3, v2, v3, s24
	v_and_b32_e32 v3, 0xffff0000, v3
	v_cmp_o_f32_e32 vcc, v2, v2
	v_cndmask_b32_e32 v2, v25, v3, vcc
	v_lshlrev_b32_e32 v3, 16, v5
	v_mul_f32_e32 v2, v2, v3
	v_bfe_u32 v3, v2, 16, 1
	v_add3_u32 v3, v2, v3, s24
	v_and_b32_e32 v3, 0xffff0000, v3
	v_cmp_o_f32_e32 vcc, v2, v2
	v_cndmask_b32_e32 v2, v25, v3, vcc
	v_mul_f32_e32 v2, v24, v2
	v_min_f32_e32 v2, 0x43e00000, v2
	v_max_f32_e32 v2, 0xc3e00000, v2
	v_and_b32_sdwa v4, v2, s25 dst_sel:DWORD dst_unused:UNUSED_PAD src0_sel:BYTE_3 src1_sel:DWORD
	v_and_b32_e32 v6, 0x7f800000, v2
	v_mov_b32_e32 v7, v19
	v_and_b32_e32 v18, 0x7fffff, v2
	v_or_b32_e32 v3, 0x7e, v4
	v_cmp_ne_u64_e32 vcc, s[6:7], v[6:7]
	s_and_saveexec_b64 s[0:1], vcc
	s_xor_b64 s[12:13], exec, s[0:1]
	s_cbranch_execz .LBB20_267
; %bb.254:                              ;   in Loop: Header=BB20_29 Depth=1
	v_and_b32_e32 v6, 0x7fffffff, v2
	v_mov_b32_e32 v7, v19
	v_cmp_gt_u64_e32 vcc, s[10:11], v[6:7]
	s_and_saveexec_b64 s[0:1], vcc
	s_xor_b64 s[14:15], exec, s[0:1]
	s_cbranch_execz .LBB20_266
; %bb.255:                              ;   in Loop: Header=BB20_29 Depth=1
	v_cmp_ne_u32_e32 vcc, 0, v2
	v_mov_b32_e32 v3, 0
	s_and_saveexec_b64 s[16:17], vcc
	s_cbranch_execz .LBB20_265
; %bb.256:                              ;   in Loop: Header=BB20_29 Depth=1
	v_bfe_u32 v2, v2, 23, 8
	v_sub_u32_e64 v3, s26, v2 clamp
	v_cmp_eq_u32_e32 vcc, 0, v2
	v_cndmask_b32_e32 v10, v3, v26, vcc
	v_add_u32_e32 v8, 0xffffff88, v2
	v_add_u32_e32 v2, 20, v10
	v_or_b32_e32 v6, 0x800000, v18
	v_lshlrev_b64 v[2:3], v2, -1
	v_cndmask_b32_e32 v18, v6, v18, vcc
	v_not_b32_e32 v3, v3
	v_not_b32_e32 v2, v2
	v_add_u32_e32 v6, 19, v10
	v_and_b32_e32 v3, 0, v3
	v_and_b32_e32 v2, v18, v2
	v_lshlrev_b64 v[6:7], v6, 1
	v_cmp_eq_u64_e64 s[0:1], v[2:3], v[6:7]
	v_lshrrev_b64 v[2:3], v10, v[18:19]
	v_and_b32_e32 v18, 0x100000, v2
	v_cndmask_b32_e32 v6, v8, v27, vcc
	v_cmp_eq_u64_e32 vcc, 0, v[18:19]
	v_lshrrev_b32_e32 v7, 23, v2
	s_and_b64 vcc, vcc, s[0:1]
	v_add3_u32 v7, v6, v10, v7
	v_subbrev_co_u32_e32 v6, vcc, 0, v2, vcc
	v_and_b32_e32 v6, 0xfffff, v6
	v_add_co_u32_e32 v2, vcc, v6, v2
	v_add_u32_e32 v8, -1, v7
	v_addc_co_u32_e32 v3, vcc, 0, v3, vcc
	v_cmp_ne_u32_e32 vcc, 0, v8
                                        ; implicit-def: $vgpr6
	s_and_saveexec_b64 s[0:1], vcc
	s_xor_b64 s[0:1], exec, s[0:1]
; %bb.257:                              ;   in Loop: Header=BB20_29 Depth=1
	v_and_b32_e32 v18, 0x1000000, v2
	v_cmp_eq_u64_e32 vcc, 0, v[18:19]
	v_cndmask_b32_e32 v6, v7, v8, vcc
	v_bfe_u32 v7, v2, 24, 1
	v_lshrrev_b64 v[2:3], v7, v[2:3]
; %bb.258:                              ;   in Loop: Header=BB20_29 Depth=1
	s_andn2_saveexec_b64 s[0:1], s[0:1]
; %bb.259:                              ;   in Loop: Header=BB20_29 Depth=1
	v_bfe_u32 v6, v2, 23, 1
; %bb.260:                              ;   in Loop: Header=BB20_29 Depth=1
	s_or_b64 exec, exec, s[0:1]
	v_lshrrev_b64 v[2:3], 20, v[2:3]
	v_cmp_gt_i32_e32 vcc, 16, v6
	v_cndmask_b32_e32 v3, 0, v3, vcc
	v_cndmask_b32_e32 v2, 7, v2, vcc
	v_cmp_ne_u32_e32 vcc, 0, v6
	v_cmp_ne_u64_e64 s[0:1], 0, v[2:3]
	s_or_b64 s[0:1], vcc, s[0:1]
                                        ; implicit-def: $vgpr3
	s_and_saveexec_b64 s[28:29], s[0:1]
	s_xor_b64 s[0:1], exec, s[28:29]
; %bb.261:                              ;   in Loop: Header=BB20_29 Depth=1
	v_min_i32_e32 v3, 15, v6
	v_lshl_or_b32 v3, v3, 3, v4
	v_and_or_b32 v3, v2, 7, v3
                                        ; implicit-def: $vgpr4
; %bb.262:                              ;   in Loop: Header=BB20_29 Depth=1
	s_andn2_saveexec_b64 s[0:1], s[0:1]
; %bb.263:                              ;   in Loop: Header=BB20_29 Depth=1
	v_mov_b32_e32 v3, v4
; %bb.264:                              ;   in Loop: Header=BB20_29 Depth=1
	s_or_b64 exec, exec, s[0:1]
.LBB20_265:                             ;   in Loop: Header=BB20_29 Depth=1
	s_or_b64 exec, exec, s[16:17]
.LBB20_266:                             ;   in Loop: Header=BB20_29 Depth=1
	s_andn2_saveexec_b64 s[0:1], s[14:15]
	s_or_b64 exec, exec, s[0:1]
                                        ; implicit-def: $vgpr2
.LBB20_267:                             ;   in Loop: Header=BB20_29 Depth=1
	s_andn2_saveexec_b64 s[0:1], s[12:13]
; %bb.268:                              ;   in Loop: Header=BB20_29 Depth=1
	v_or_b32_sdwa v2, v2, s27 dst_sel:DWORD dst_unused:UNUSED_PAD src0_sel:BYTE_3 src1_sel:DWORD
	v_cmp_eq_u64_e32 vcc, 0, v[18:19]
	v_cndmask_b32_e32 v3, v2, v3, vcc
; %bb.269:                              ;   in Loop: Header=BB20_29 Depth=1
	s_or_b64 exec, exec, s[0:1]
	v_add_u32_e32 v2, 14, v21
	global_store_byte v2, v3, s[2:3]
	v_and_b32_e32 v2, 0xffff0000, v9
	v_mul_f32_e32 v2, v1, v2
	v_bfe_u32 v3, v2, 16, 1
	v_add3_u32 v3, v2, v3, s24
	v_and_b32_e32 v3, 0xffff0000, v3
	v_cmp_o_f32_e32 vcc, v2, v2
	v_cndmask_b32_e32 v2, v25, v3, vcc
	v_and_b32_e32 v3, 0xffff0000, v5
	v_mul_f32_e32 v2, v2, v3
	v_bfe_u32 v3, v2, 16, 1
	v_add3_u32 v3, v2, v3, s24
	v_and_b32_e32 v3, 0xffff0000, v3
	v_cmp_o_f32_e32 vcc, v2, v2
	v_cndmask_b32_e32 v2, v25, v3, vcc
	v_mul_f32_e32 v2, v24, v2
	v_min_f32_e32 v2, 0x43e00000, v2
	v_max_f32_e32 v2, 0xc3e00000, v2
	v_and_b32_sdwa v4, v2, s25 dst_sel:DWORD dst_unused:UNUSED_PAD src0_sel:BYTE_3 src1_sel:DWORD
	v_and_b32_e32 v6, 0x7f800000, v2
	v_mov_b32_e32 v7, v19
	v_and_b32_e32 v18, 0x7fffff, v2
	v_or_b32_e32 v3, 0x7e, v4
	v_cmp_ne_u64_e32 vcc, s[6:7], v[6:7]
	s_and_saveexec_b64 s[0:1], vcc
	s_xor_b64 s[12:13], exec, s[0:1]
	s_cbranch_execz .LBB20_283
; %bb.270:                              ;   in Loop: Header=BB20_29 Depth=1
	v_and_b32_e32 v6, 0x7fffffff, v2
	v_mov_b32_e32 v7, v19
	v_cmp_gt_u64_e32 vcc, s[10:11], v[6:7]
	s_and_saveexec_b64 s[0:1], vcc
	s_xor_b64 s[14:15], exec, s[0:1]
	s_cbranch_execz .LBB20_282
; %bb.271:                              ;   in Loop: Header=BB20_29 Depth=1
	v_cmp_ne_u32_e32 vcc, 0, v2
	v_mov_b32_e32 v3, 0
	s_and_saveexec_b64 s[16:17], vcc
	s_cbranch_execz .LBB20_281
; %bb.272:                              ;   in Loop: Header=BB20_29 Depth=1
	v_bfe_u32 v2, v2, 23, 8
	v_sub_u32_e64 v3, s26, v2 clamp
	v_cmp_eq_u32_e32 vcc, 0, v2
	v_cndmask_b32_e32 v9, v3, v26, vcc
	v_add_u32_e32 v8, 0xffffff88, v2
	v_add_u32_e32 v2, 20, v9
	v_or_b32_e32 v5, 0x800000, v18
	v_lshlrev_b64 v[2:3], v2, -1
	v_cndmask_b32_e32 v18, v5, v18, vcc
	v_not_b32_e32 v3, v3
	v_not_b32_e32 v2, v2
	v_add_u32_e32 v5, 19, v9
	v_and_b32_e32 v3, 0, v3
	v_and_b32_e32 v2, v18, v2
	v_lshlrev_b64 v[6:7], v5, 1
	v_cmp_eq_u64_e64 s[0:1], v[2:3], v[6:7]
	v_lshrrev_b64 v[2:3], v9, v[18:19]
	v_and_b32_e32 v18, 0x100000, v2
	v_cndmask_b32_e32 v5, v8, v27, vcc
	v_cmp_eq_u64_e32 vcc, 0, v[18:19]
	v_lshrrev_b32_e32 v6, 23, v2
	s_and_b64 vcc, vcc, s[0:1]
	v_add3_u32 v6, v5, v9, v6
	v_subbrev_co_u32_e32 v5, vcc, 0, v2, vcc
	v_and_b32_e32 v5, 0xfffff, v5
	v_add_co_u32_e32 v2, vcc, v5, v2
	v_add_u32_e32 v7, -1, v6
	v_addc_co_u32_e32 v3, vcc, 0, v3, vcc
	v_cmp_ne_u32_e32 vcc, 0, v7
                                        ; implicit-def: $vgpr5
	s_and_saveexec_b64 s[0:1], vcc
	s_xor_b64 s[0:1], exec, s[0:1]
; %bb.273:                              ;   in Loop: Header=BB20_29 Depth=1
	v_and_b32_e32 v18, 0x1000000, v2
	v_cmp_eq_u64_e32 vcc, 0, v[18:19]
	v_cndmask_b32_e32 v5, v6, v7, vcc
	v_bfe_u32 v6, v2, 24, 1
	v_lshrrev_b64 v[2:3], v6, v[2:3]
; %bb.274:                              ;   in Loop: Header=BB20_29 Depth=1
	s_andn2_saveexec_b64 s[0:1], s[0:1]
; %bb.275:                              ;   in Loop: Header=BB20_29 Depth=1
	v_bfe_u32 v5, v2, 23, 1
; %bb.276:                              ;   in Loop: Header=BB20_29 Depth=1
	s_or_b64 exec, exec, s[0:1]
	v_lshrrev_b64 v[2:3], 20, v[2:3]
	v_cmp_gt_i32_e32 vcc, 16, v5
	v_cndmask_b32_e32 v3, 0, v3, vcc
	v_cndmask_b32_e32 v2, 7, v2, vcc
	v_cmp_ne_u32_e32 vcc, 0, v5
	v_cmp_ne_u64_e64 s[0:1], 0, v[2:3]
	s_or_b64 s[0:1], vcc, s[0:1]
                                        ; implicit-def: $vgpr3
	s_and_saveexec_b64 s[28:29], s[0:1]
	s_xor_b64 s[0:1], exec, s[28:29]
; %bb.277:                              ;   in Loop: Header=BB20_29 Depth=1
	v_min_i32_e32 v3, 15, v5
	v_lshl_or_b32 v3, v3, 3, v4
	v_and_or_b32 v3, v2, 7, v3
                                        ; implicit-def: $vgpr4
; %bb.278:                              ;   in Loop: Header=BB20_29 Depth=1
	s_andn2_saveexec_b64 s[0:1], s[0:1]
; %bb.279:                              ;   in Loop: Header=BB20_29 Depth=1
	v_mov_b32_e32 v3, v4
; %bb.280:                              ;   in Loop: Header=BB20_29 Depth=1
	s_or_b64 exec, exec, s[0:1]
.LBB20_281:                             ;   in Loop: Header=BB20_29 Depth=1
	s_or_b64 exec, exec, s[16:17]
.LBB20_282:                             ;   in Loop: Header=BB20_29 Depth=1
	s_andn2_saveexec_b64 s[0:1], s[14:15]
	s_or_b64 exec, exec, s[0:1]
                                        ; implicit-def: $vgpr2
.LBB20_283:                             ;   in Loop: Header=BB20_29 Depth=1
	s_andn2_saveexec_b64 s[0:1], s[12:13]
	s_cbranch_execz .LBB20_28
; %bb.284:                              ;   in Loop: Header=BB20_29 Depth=1
	v_or_b32_sdwa v2, v2, s27 dst_sel:DWORD dst_unused:UNUSED_PAD src0_sel:BYTE_3 src1_sel:DWORD
	v_cmp_eq_u64_e32 vcc, 0, v[18:19]
	v_cndmask_b32_e32 v3, v2, v3, vcc
	s_branch .LBB20_28
.LBB20_285:
	s_endpgm
	.section	.rodata,"a",@progbits
	.p2align	6, 0x0
	.amdhsa_kernel _ZN4vllm32rms_norm_static_fp8_quant_kernelIN3c108BFloat16ENS1_13Float8_e4m3fnELi16EEEvPT0_PKT_iS8_PKffii
		.amdhsa_group_segment_fixed_size 68
		.amdhsa_private_segment_fixed_size 0
		.amdhsa_kernarg_size 312
		.amdhsa_user_sgpr_count 6
		.amdhsa_user_sgpr_private_segment_buffer 1
		.amdhsa_user_sgpr_dispatch_ptr 0
		.amdhsa_user_sgpr_queue_ptr 0
		.amdhsa_user_sgpr_kernarg_segment_ptr 1
		.amdhsa_user_sgpr_dispatch_id 0
		.amdhsa_user_sgpr_flat_scratch_init 0
		.amdhsa_user_sgpr_kernarg_preload_length 0
		.amdhsa_user_sgpr_kernarg_preload_offset 0
		.amdhsa_user_sgpr_private_segment_size 0
		.amdhsa_uses_dynamic_stack 0
		.amdhsa_system_sgpr_private_segment_wavefront_offset 0
		.amdhsa_system_sgpr_workgroup_id_x 1
		.amdhsa_system_sgpr_workgroup_id_y 0
		.amdhsa_system_sgpr_workgroup_id_z 0
		.amdhsa_system_sgpr_workgroup_info 0
		.amdhsa_system_vgpr_workitem_id 0
		.amdhsa_next_free_vgpr 34
		.amdhsa_next_free_sgpr 30
		.amdhsa_accum_offset 36
		.amdhsa_reserve_vcc 1
		.amdhsa_reserve_flat_scratch 0
		.amdhsa_float_round_mode_32 0
		.amdhsa_float_round_mode_16_64 0
		.amdhsa_float_denorm_mode_32 3
		.amdhsa_float_denorm_mode_16_64 3
		.amdhsa_dx10_clamp 1
		.amdhsa_ieee_mode 1
		.amdhsa_fp16_overflow 0
		.amdhsa_tg_split 0
		.amdhsa_exception_fp_ieee_invalid_op 0
		.amdhsa_exception_fp_denorm_src 0
		.amdhsa_exception_fp_ieee_div_zero 0
		.amdhsa_exception_fp_ieee_overflow 0
		.amdhsa_exception_fp_ieee_underflow 0
		.amdhsa_exception_fp_ieee_inexact 0
		.amdhsa_exception_int_div_zero 0
	.end_amdhsa_kernel
	.section	.text._ZN4vllm32rms_norm_static_fp8_quant_kernelIN3c108BFloat16ENS1_13Float8_e4m3fnELi16EEEvPT0_PKT_iS8_PKffii,"axG",@progbits,_ZN4vllm32rms_norm_static_fp8_quant_kernelIN3c108BFloat16ENS1_13Float8_e4m3fnELi16EEEvPT0_PKT_iS8_PKffii,comdat
.Lfunc_end20:
	.size	_ZN4vllm32rms_norm_static_fp8_quant_kernelIN3c108BFloat16ENS1_13Float8_e4m3fnELi16EEEvPT0_PKT_iS8_PKffii, .Lfunc_end20-_ZN4vllm32rms_norm_static_fp8_quant_kernelIN3c108BFloat16ENS1_13Float8_e4m3fnELi16EEEvPT0_PKT_iS8_PKffii
                                        ; -- End function
	.section	.AMDGPU.csdata,"",@progbits
; Kernel info:
; codeLenInByte = 10892
; NumSgprs: 34
; NumVgprs: 34
; NumAgprs: 0
; TotalNumVgprs: 34
; ScratchSize: 0
; MemoryBound: 0
; FloatMode: 240
; IeeeMode: 1
; LDSByteSize: 68 bytes/workgroup (compile time only)
; SGPRBlocks: 4
; VGPRBlocks: 4
; NumSGPRsForWavesPerEU: 34
; NumVGPRsForWavesPerEU: 34
; AccumOffset: 36
; Occupancy: 8
; WaveLimiterHint : 0
; COMPUTE_PGM_RSRC2:SCRATCH_EN: 0
; COMPUTE_PGM_RSRC2:USER_SGPR: 6
; COMPUTE_PGM_RSRC2:TRAP_HANDLER: 0
; COMPUTE_PGM_RSRC2:TGID_X_EN: 1
; COMPUTE_PGM_RSRC2:TGID_Y_EN: 0
; COMPUTE_PGM_RSRC2:TGID_Z_EN: 0
; COMPUTE_PGM_RSRC2:TIDIG_COMP_CNT: 0
; COMPUTE_PGM_RSRC3_GFX90A:ACCUM_OFFSET: 8
; COMPUTE_PGM_RSRC3_GFX90A:TG_SPLIT: 0
	.section	.text._ZN4vllm32rms_norm_static_fp8_quant_kernelIN3c108BFloat16ENS1_13Float8_e4m3fnELi8EEEvPT0_PKT_iS8_PKffii,"axG",@progbits,_ZN4vllm32rms_norm_static_fp8_quant_kernelIN3c108BFloat16ENS1_13Float8_e4m3fnELi8EEEvPT0_PKT_iS8_PKffii,comdat
	.protected	_ZN4vllm32rms_norm_static_fp8_quant_kernelIN3c108BFloat16ENS1_13Float8_e4m3fnELi8EEEvPT0_PKT_iS8_PKffii ; -- Begin function _ZN4vllm32rms_norm_static_fp8_quant_kernelIN3c108BFloat16ENS1_13Float8_e4m3fnELi8EEEvPT0_PKT_iS8_PKffii
	.globl	_ZN4vllm32rms_norm_static_fp8_quant_kernelIN3c108BFloat16ENS1_13Float8_e4m3fnELi8EEEvPT0_PKT_iS8_PKffii
	.p2align	8
	.type	_ZN4vllm32rms_norm_static_fp8_quant_kernelIN3c108BFloat16ENS1_13Float8_e4m3fnELi8EEEvPT0_PKT_iS8_PKffii,@function
_ZN4vllm32rms_norm_static_fp8_quant_kernelIN3c108BFloat16ENS1_13Float8_e4m3fnELi8EEEvPT0_PKT_iS8_PKffii: ; @_ZN4vllm32rms_norm_static_fp8_quant_kernelIN3c108BFloat16ENS1_13Float8_e4m3fnELi8EEEvPT0_PKT_iS8_PKffii
; %bb.0:
	s_load_dword s2, s[4:5], 0x10
	s_load_dwordx2 s[0:1], s[4:5], 0x8
	s_load_dword s7, s[4:5], 0x30
	s_load_dword s10, s[4:5], 0x44
	s_mov_b32 s9, 0
	s_waitcnt lgkmcnt(0)
	s_mul_i32 s8, s6, s2
	s_lshl_b64 s[2:3], s[8:9], 1
	s_add_u32 s18, s0, s2
	s_addc_u32 s19, s1, s3
	s_and_b32 s20, s10, 0xffff
	s_and_b32 s8, s18, 15
	s_cmp_lg_u64 s[8:9], 0
	s_cselect_b64 s[8:9], -1, 0
	s_and_b32 s10, s7, 7
	s_cmp_lg_u32 s10, 0
	s_cselect_b64 s[10:11], -1, 0
	s_or_b64 s[8:9], s[8:9], s[10:11]
	s_and_b64 vcc, exec, s[8:9]
	s_cbranch_vccz .LBB21_14
; %bb.1:
	s_sub_i32 s8, 0, s18
	s_bfe_u32 s8, s8, 0x30001
	s_min_i32 s8, s8, s7
	v_cmp_gt_i32_e32 vcc, s8, v0
	v_mov_b32_e32 v1, 0
	s_and_saveexec_b64 s[10:11], vcc
	s_cbranch_execz .LBB21_5
; %bb.2:
	s_add_u32 s9, s0, s2
	v_lshlrev_b32_e32 v1, 1, v0
	s_addc_u32 s12, s1, s3
	s_mov_b32 s14, 0
	v_mov_b32_e32 v3, s12
	v_add_co_u32_e32 v2, vcc, s9, v1
	v_addc_co_u32_e32 v3, vcc, 0, v3, vcc
	s_lshl_b32 s9, s20, 1
	s_mov_b64 s[12:13], 0
	v_mov_b32_e32 v1, 0
	v_mov_b32_e32 v4, s14
	;; [unrolled: 1-line block ×3, first 2 shown]
.LBB21_3:                               ; =>This Inner Loop Header: Depth=1
	global_load_ushort v6, v[2:3], off
	v_add_co_u32_e32 v2, vcc, s9, v2
	v_add_u32_e32 v5, s20, v5
	v_addc_co_u32_e32 v3, vcc, v3, v4, vcc
	v_cmp_le_i32_e32 vcc, s8, v5
	s_or_b64 s[12:13], vcc, s[12:13]
	s_waitcnt vmcnt(0)
	v_lshlrev_b32_e32 v6, 16, v6
	v_fmac_f32_e32 v1, v6, v6
	s_andn2_b64 exec, exec, s[12:13]
	s_cbranch_execnz .LBB21_3
; %bb.4:
	s_or_b64 exec, exec, s[12:13]
.LBB21_5:
	s_or_b64 exec, exec, s[10:11]
	s_sub_i32 s14, s7, s8
	s_ashr_i32 s10, s14, 31
	s_lshr_b32 s10, s10, 29
	s_add_i32 s10, s14, s10
	s_ashr_i32 s15, s10, 3
	s_ashr_i32 s9, s8, 31
	v_cmp_gt_i32_e32 vcc, s15, v0
	s_and_saveexec_b64 s[10:11], vcc
	s_cbranch_execz .LBB21_9
; %bb.6:
	s_lshl_b64 s[12:13], s[8:9], 1
	s_add_u32 s16, s0, s2
	s_addc_u32 s21, s1, s3
	s_add_u32 s12, s16, s12
	v_lshlrev_b32_e32 v2, 4, v0
	s_addc_u32 s13, s21, s13
	v_mov_b32_e32 v3, s13
	v_add_co_u32_e32 v2, vcc, s12, v2
	v_addc_co_u32_e32 v3, vcc, 0, v3, vcc
	s_mov_b32 s17, 0
	v_add_co_u32_e32 v2, vcc, 8, v2
	v_addc_co_u32_e32 v3, vcc, 0, v3, vcc
	s_lshl_b32 s16, s20, 4
	s_mov_b64 s[12:13], 0
	v_mov_b32_e32 v4, s17
	v_mov_b32_e32 v5, v0
.LBB21_7:                               ; =>This Inner Loop Header: Depth=1
	global_load_dwordx4 v[6:9], v[2:3], off offset:-8
	v_add_co_u32_e32 v2, vcc, s16, v2
	v_add_u32_e32 v5, s20, v5
	v_addc_co_u32_e32 v3, vcc, v3, v4, vcc
	v_cmp_le_i32_e32 vcc, s15, v5
	s_or_b64 s[12:13], vcc, s[12:13]
	s_waitcnt vmcnt(0)
	v_and_b32_e32 v11, 0xffff0000, v6
	v_lshlrev_b32_e32 v10, 16, v6
	v_and_b32_e32 v13, 0xffff0000, v7
	v_lshlrev_b32_e32 v12, 16, v7
	;; [unrolled: 2-line block ×4, first 2 shown]
	v_pk_mul_f32 v[8:9], v[10:11], v[10:11]
	v_add_f32_e32 v1, v1, v8
	v_pk_mul_f32 v[10:11], v[12:13], v[12:13]
	v_add_f32_e32 v1, v1, v9
	v_add_f32_e32 v1, v1, v10
	v_pk_mul_f32 v[6:7], v[6:7], v[6:7]
	v_add_f32_e32 v1, v1, v11
	v_add_f32_e32 v1, v1, v6
	v_pk_mul_f32 v[12:13], v[14:15], v[14:15]
	v_add_f32_e32 v1, v1, v7
	v_add_f32_e32 v1, v1, v12
	v_add_f32_e32 v1, v1, v13
	s_andn2_b64 exec, exec, s[12:13]
	s_cbranch_execnz .LBB21_7
; %bb.8:
	s_or_b64 exec, exec, s[12:13]
.LBB21_9:
	s_or_b64 exec, exec, s[10:11]
	v_lshl_add_u32 v2, s15, 3, v0
	v_cmp_gt_i32_e32 vcc, s14, v2
	s_and_saveexec_b64 s[10:11], vcc
	s_cbranch_execz .LBB21_13
; %bb.10:
	s_lshl_b64 s[8:9], s[8:9], 1
	s_add_u32 s12, s0, s2
	s_addc_u32 s13, s1, s3
	v_ashrrev_i32_e32 v3, 31, v2
	s_add_u32 s8, s12, s8
	v_lshlrev_b64 v[4:5], 1, v[2:3]
	s_addc_u32 s9, s13, s9
	v_mov_b32_e32 v3, s9
	v_add_co_u32_e32 v4, vcc, s8, v4
	s_mov_b32 s13, 0
	v_addc_co_u32_e32 v5, vcc, v3, v5, vcc
	s_lshl_b32 s12, s20, 1
	s_mov_b64 s[8:9], 0
	v_mov_b32_e32 v3, s13
.LBB21_11:                              ; =>This Inner Loop Header: Depth=1
	global_load_ushort v6, v[4:5], off
	v_add_co_u32_e32 v4, vcc, s12, v4
	v_add_u32_e32 v2, s20, v2
	v_addc_co_u32_e32 v5, vcc, v5, v3, vcc
	v_cmp_le_i32_e32 vcc, s14, v2
	s_or_b64 s[8:9], vcc, s[8:9]
	s_waitcnt vmcnt(0)
	v_lshlrev_b32_e32 v6, 16, v6
	v_fmac_f32_e32 v1, v6, v6
	s_andn2_b64 exec, exec, s[8:9]
	s_cbranch_execnz .LBB21_11
; %bb.12:
	s_or_b64 exec, exec, s[8:9]
.LBB21_13:
	s_or_b64 exec, exec, s[10:11]
	s_branch .LBB21_20
.LBB21_14:
                                        ; implicit-def: $vgpr1
	s_cbranch_execz .LBB21_20
; %bb.15:
	s_ashr_i32 s10, s7, 3
	v_cmp_gt_i32_e32 vcc, s10, v0
	v_mov_b32_e32 v1, 0
	s_and_saveexec_b64 s[8:9], vcc
	s_cbranch_execz .LBB21_19
; %bb.16:
	s_add_u32 s0, s0, s2
	v_lshlrev_b32_e32 v1, 4, v0
	s_addc_u32 s1, s1, s3
	v_mov_b32_e32 v2, s1
	v_add_co_u32_e32 v1, vcc, s0, v1
	v_addc_co_u32_e32 v3, vcc, 0, v2, vcc
	s_mov_b32 s11, 0
	v_add_co_u32_e32 v2, vcc, 8, v1
	v_addc_co_u32_e32 v3, vcc, 0, v3, vcc
	s_lshl_b32 s2, s20, 4
	s_mov_b64 s[0:1], 0
	v_mov_b32_e32 v1, 0
	v_mov_b32_e32 v4, s11
	;; [unrolled: 1-line block ×3, first 2 shown]
.LBB21_17:                              ; =>This Inner Loop Header: Depth=1
	global_load_dwordx4 v[6:9], v[2:3], off offset:-8
	v_add_co_u32_e32 v2, vcc, s2, v2
	v_add_u32_e32 v5, s20, v5
	v_addc_co_u32_e32 v3, vcc, v3, v4, vcc
	v_cmp_le_i32_e32 vcc, s10, v5
	s_or_b64 s[0:1], vcc, s[0:1]
	s_waitcnt vmcnt(0)
	v_and_b32_e32 v11, 0xffff0000, v6
	v_lshlrev_b32_e32 v10, 16, v6
	v_and_b32_e32 v13, 0xffff0000, v7
	v_lshlrev_b32_e32 v12, 16, v7
	;; [unrolled: 2-line block ×4, first 2 shown]
	v_pk_mul_f32 v[8:9], v[10:11], v[10:11]
	v_add_f32_e32 v1, v1, v8
	v_pk_mul_f32 v[10:11], v[12:13], v[12:13]
	v_add_f32_e32 v1, v9, v1
	v_add_f32_e32 v1, v10, v1
	v_pk_mul_f32 v[6:7], v[6:7], v[6:7]
	v_add_f32_e32 v1, v11, v1
	;; [unrolled: 3-line block ×3, first 2 shown]
	v_add_f32_e32 v1, v12, v1
	v_add_f32_e32 v1, v13, v1
	s_andn2_b64 exec, exec, s[0:1]
	s_cbranch_execnz .LBB21_17
; %bb.18:
	s_or_b64 exec, exec, s[0:1]
.LBB21_19:
	s_or_b64 exec, exec, s[8:9]
.LBB21_20:
	v_mbcnt_lo_u32_b32 v2, -1, 0
	v_mbcnt_hi_u32_b32 v2, -1, v2
	v_and_b32_e32 v3, 63, v2
	v_cmp_ne_u32_e32 vcc, 63, v3
	v_addc_co_u32_e32 v4, vcc, 0, v2, vcc
	v_lshlrev_b32_e32 v4, 2, v4
	ds_bpermute_b32 v4, v4, v1
	v_and_b32_e32 v5, 0x3c0, v0
	v_sub_u32_e64 v5, s20, v5 clamp
	v_add_u32_e32 v6, 1, v2
	v_cmp_lt_u32_e32 vcc, v6, v5
	s_waitcnt lgkmcnt(0)
	v_add_f32_e32 v4, v1, v4
	v_cndmask_b32_e32 v1, v1, v4, vcc
	v_cmp_gt_u32_e32 vcc, 62, v3
	v_cndmask_b32_e64 v4, 0, 1, vcc
	v_lshlrev_b32_e32 v4, 1, v4
	v_add_lshl_u32 v4, v4, v2, 2
	ds_bpermute_b32 v4, v4, v1
	v_add_u32_e32 v6, 2, v2
	v_cmp_lt_u32_e32 vcc, v6, v5
	v_add_u32_e32 v6, 4, v2
	s_waitcnt lgkmcnt(0)
	v_add_f32_e32 v4, v1, v4
	v_cndmask_b32_e32 v1, v1, v4, vcc
	v_cmp_gt_u32_e32 vcc, 60, v3
	v_cndmask_b32_e64 v4, 0, 1, vcc
	v_lshlrev_b32_e32 v4, 2, v4
	v_add_lshl_u32 v4, v4, v2, 2
	ds_bpermute_b32 v4, v4, v1
	v_cmp_lt_u32_e32 vcc, v6, v5
	v_add_u32_e32 v6, 8, v2
	s_waitcnt lgkmcnt(0)
	v_add_f32_e32 v4, v1, v4
	v_cndmask_b32_e32 v1, v1, v4, vcc
	v_cmp_gt_u32_e32 vcc, 56, v3
	v_cndmask_b32_e64 v4, 0, 1, vcc
	v_lshlrev_b32_e32 v4, 3, v4
	v_add_lshl_u32 v4, v4, v2, 2
	ds_bpermute_b32 v4, v4, v1
	v_cmp_lt_u32_e32 vcc, v6, v5
	v_add_u32_e32 v6, 16, v2
	s_waitcnt lgkmcnt(0)
	v_add_f32_e32 v4, v1, v4
	v_cndmask_b32_e32 v1, v1, v4, vcc
	v_cmp_gt_u32_e32 vcc, 48, v3
	v_cndmask_b32_e64 v4, 0, 1, vcc
	v_lshlrev_b32_e32 v4, 4, v4
	v_add_lshl_u32 v4, v4, v2, 2
	ds_bpermute_b32 v4, v4, v1
	v_cmp_lt_u32_e32 vcc, v6, v5
	s_waitcnt lgkmcnt(0)
	v_add_f32_e32 v4, v1, v4
	v_cndmask_b32_e32 v1, v1, v4, vcc
	v_cmp_gt_u32_e32 vcc, 32, v3
	v_cndmask_b32_e64 v3, 0, 1, vcc
	v_lshlrev_b32_e32 v3, 5, v3
	v_add_lshl_u32 v3, v3, v2, 2
	ds_bpermute_b32 v3, v3, v1
	v_add_u32_e32 v4, 32, v2
	v_cmp_lt_u32_e32 vcc, v4, v5
	s_waitcnt lgkmcnt(0)
	v_add_f32_e32 v3, v1, v3
	v_cndmask_b32_e32 v1, v1, v3, vcc
	v_cmp_eq_u32_e32 vcc, 0, v2
	s_and_saveexec_b64 s[0:1], vcc
	s_cbranch_execz .LBB21_22
; %bb.21:
	v_lshrrev_b32_e32 v3, 4, v0
	v_and_b32_e32 v3, 60, v3
	ds_write_b32 v3, v1
.LBB21_22:
	s_or_b64 exec, exec, s[0:1]
	v_cmp_gt_u32_e32 vcc, 16, v0
	s_waitcnt lgkmcnt(0)
	s_barrier
	s_and_saveexec_b64 s[2:3], vcc
	s_cbranch_execz .LBB21_24
; %bb.23:
	v_lshlrev_b32_e32 v1, 2, v2
	ds_read_b32 v1, v1
	v_and_b32_e32 v3, 15, v2
	v_cmp_ne_u32_e32 vcc, 15, v3
	v_addc_co_u32_e32 v4, vcc, 0, v2, vcc
	v_lshlrev_b32_e32 v4, 2, v4
	s_waitcnt lgkmcnt(0)
	ds_bpermute_b32 v4, v4, v1
	s_add_i32 s0, s20, 63
	s_lshr_b32 s8, s0, 6
	v_add_u32_e32 v5, 1, v3
	v_cmp_gt_u32_e64 s[0:1], 14, v3
	v_cmp_gt_u32_e32 vcc, s8, v5
	v_cndmask_b32_e64 v5, 0, 1, s[0:1]
	s_waitcnt lgkmcnt(0)
	v_add_f32_e32 v4, v1, v4
	v_lshlrev_b32_e32 v5, 1, v5
	v_cndmask_b32_e32 v4, v1, v4, vcc
	v_add_lshl_u32 v5, v5, v2, 2
	ds_bpermute_b32 v5, v5, v4
	v_add_u32_e32 v6, 2, v3
	v_cmp_gt_u32_e64 s[0:1], s8, v6
	v_add_u32_e32 v6, 4, v3
	s_waitcnt lgkmcnt(0)
	v_add_f32_e32 v5, v4, v5
	v_cndmask_b32_e64 v4, v4, v5, s[0:1]
	v_cmp_gt_u32_e64 s[0:1], 12, v3
	v_cndmask_b32_e64 v5, 0, 1, s[0:1]
	v_lshlrev_b32_e32 v5, 2, v5
	v_add_lshl_u32 v5, v5, v2, 2
	ds_bpermute_b32 v5, v5, v4
	v_cmp_gt_u32_e64 s[0:1], s8, v6
	s_waitcnt lgkmcnt(0)
	v_add_f32_e32 v5, v4, v5
	v_cndmask_b32_e64 v4, v4, v5, s[0:1]
	v_cmp_gt_u32_e64 s[0:1], 8, v3
	v_cndmask_b32_e64 v5, 0, 1, s[0:1]
	v_lshlrev_b32_e32 v5, 3, v5
	v_add_lshl_u32 v2, v5, v2, 2
	ds_bpermute_b32 v2, v2, v4
	v_add_u32_e32 v3, 8, v3
	v_cmp_gt_u32_e64 s[0:1], s8, v3
	s_waitcnt lgkmcnt(0)
	v_add_f32_e32 v2, v4, v2
	v_cndmask_b32_e64 v2, v4, v2, s[0:1]
	v_cndmask_b32_e32 v1, v1, v2, vcc
.LBB21_24:
	s_or_b64 exec, exec, s[2:3]
	v_cmp_eq_u32_e32 vcc, 0, v0
	s_and_saveexec_b64 s[0:1], vcc
	s_cbranch_execz .LBB21_26
; %bb.25:
	v_cvt_f32_i32_e32 v2, s7
	s_load_dword s8, s[4:5], 0x28
	v_div_scale_f32 v3, s[2:3], v2, v2, v1
	v_rcp_f32_e32 v4, v3
	v_div_scale_f32 v5, vcc, v1, v2, v1
	s_mov_b32 s2, 0x800000
	v_fma_f32 v6, -v3, v4, 1.0
	v_fmac_f32_e32 v4, v6, v4
	v_mul_f32_e32 v6, v5, v4
	v_fma_f32 v7, -v3, v6, v5
	v_fmac_f32_e32 v6, v7, v4
	v_fma_f32 v3, -v3, v6, v5
	v_div_fmas_f32 v3, v3, v4, v6
	v_div_fixup_f32 v1, v3, v2, v1
	s_waitcnt lgkmcnt(0)
	v_add_f32_e32 v1, s8, v1
	v_mul_f32_e32 v2, 0x4b800000, v1
	v_cmp_gt_f32_e32 vcc, s2, v1
	v_cndmask_b32_e32 v1, v1, v2, vcc
	v_rsq_f32_e32 v1, v1
	v_mul_f32_e32 v2, 0x45800000, v1
	v_cndmask_b32_e32 v1, v1, v2, vcc
	v_mov_b32_e32 v2, 0
	ds_write_b32 v2, v1 offset:64
.LBB21_26:
	s_or_b64 exec, exec, s[0:1]
	s_ashr_i32 s0, s7, 31
	s_lshr_b32 s0, s0, 29
	s_add_i32 s0, s7, s0
	s_ashr_i32 s21, s0, 3
	v_cmp_gt_i32_e32 vcc, s21, v0
	s_waitcnt lgkmcnt(0)
	s_barrier
	s_and_saveexec_b64 s[0:1], vcc
	s_cbranch_execz .LBB21_157
; %bb.27:
	s_load_dwordx4 s[8:11], s[4:5], 0x18
	s_load_dwordx2 s[2:3], s[4:5], 0x0
	v_mov_b32_e32 v11, 0
	ds_read_b32 v1, v11 offset:64
	s_mul_i32 s6, s6, s7
	s_waitcnt lgkmcnt(0)
	s_load_dword s4, s[10:11], 0x0
	s_lshl_b32 s22, s20, 3
	v_lshlrev_b32_e32 v12, 4, v0
	v_lshl_add_u32 v13, v0, 3, s6
	s_lshl_b32 s23, s20, 4
	s_waitcnt lgkmcnt(0)
	v_div_scale_f32 v2, s[0:1], s4, s4, 1.0
	v_rcp_f32_e32 v3, v2
	v_div_scale_f32 v4, vcc, 1.0, s4, 1.0
	s_movk_i32 s24, 0x7fff
	v_fma_f32 v5, -v2, v3, 1.0
	v_fmac_f32_e32 v3, v5, v3
	v_mul_f32_e32 v5, v4, v3
	v_fma_f32 v6, -v2, v5, v4
	v_fmac_f32_e32 v5, v6, v3
	v_fma_f32 v2, -v2, v5, v4
	v_div_fmas_f32 v2, v2, v3, v5
	v_div_fixup_f32 v16, v2, s4, 1.0
	s_mov_b64 s[4:5], 0
	v_mov_b32_e32 v17, 0x7fc00000
	s_movk_i32 s25, 0x80
	s_mov_b64 s[6:7], 0x7f800000
	s_mov_b64 s[10:11], 0x43e00001
	s_movk_i32 s26, 0x79
	s_movk_i32 s27, 0x7f
	v_mov_b32_e32 v18, 0x78
	v_mov_b32_e32 v19, 0xffffff89
	s_branch .LBB21_29
.LBB21_28:                              ;   in Loop: Header=BB21_29 Depth=1
	s_or_b64 exec, exec, s[0:1]
	s_add_u32 s8, s8, s23
	s_addc_u32 s9, s9, 0
	v_add_u32_e32 v0, s20, v0
	s_add_u32 s18, s18, s23
	s_addc_u32 s19, s19, 0
	v_cmp_le_i32_e32 vcc, s21, v0
	v_add_u32_e32 v2, 7, v13
	s_or_b64 s[4:5], vcc, s[4:5]
	v_add_u32_e32 v13, s22, v13
	global_store_byte v2, v3, s[2:3]
	s_andn2_b64 exec, exec, s[4:5]
	s_cbranch_execz .LBB21_157
.LBB21_29:                              ; =>This Inner Loop Header: Depth=1
	v_mov_b32_e32 v3, s19
	v_add_co_u32_e32 v2, vcc, s18, v12
	v_addc_co_u32_e32 v3, vcc, 0, v3, vcc
	global_load_dwordx4 v[2:5], v[2:3], off
	v_mov_b32_e32 v7, s9
	v_add_co_u32_e32 v6, vcc, s8, v12
	v_addc_co_u32_e32 v7, vcc, 0, v7, vcc
	global_load_dwordx4 v[6:9], v[6:7], off
	v_mov_b32_e32 v23, v11
	s_waitcnt vmcnt(1)
	v_lshlrev_b32_e32 v10, 16, v2
	v_mul_f32_e32 v10, v1, v10
	v_bfe_u32 v15, v10, 16, 1
	v_add3_u32 v15, v10, v15, s24
	v_and_b32_e32 v15, 0xffff0000, v15
	v_cmp_o_f32_e32 vcc, v10, v10
	s_waitcnt vmcnt(0)
	v_lshlrev_b32_e32 v14, 16, v6
	v_cndmask_b32_e32 v10, v17, v15, vcc
	v_mul_f32_e32 v10, v10, v14
	v_bfe_u32 v14, v10, 16, 1
	v_add3_u32 v14, v10, v14, s24
	v_and_b32_e32 v14, 0xffff0000, v14
	v_cmp_o_f32_e32 vcc, v10, v10
	v_cndmask_b32_e32 v10, v17, v14, vcc
	v_mul_f32_e32 v10, v16, v10
	v_min_f32_e32 v10, 0x43e00000, v10
	v_max_f32_e32 v14, 0xc3e00000, v10
	v_and_b32_sdwa v20, v14, s25 dst_sel:DWORD dst_unused:UNUSED_PAD src0_sel:BYTE_3 src1_sel:DWORD
	v_and_b32_e32 v22, 0x7f800000, v14
	v_and_b32_e32 v10, 0x7fffff, v14
	v_or_b32_e32 v15, 0x7e, v20
	v_cmp_ne_u64_e32 vcc, s[6:7], v[22:23]
	s_and_saveexec_b64 s[0:1], vcc
	s_xor_b64 s[12:13], exec, s[0:1]
	s_cbranch_execz .LBB21_43
; %bb.30:                               ;   in Loop: Header=BB21_29 Depth=1
	v_and_b32_e32 v22, 0x7fffffff, v14
	v_mov_b32_e32 v23, v11
	v_cmp_gt_u64_e32 vcc, s[10:11], v[22:23]
	s_and_saveexec_b64 s[0:1], vcc
	s_xor_b64 s[14:15], exec, s[0:1]
	s_cbranch_execz .LBB21_42
; %bb.31:                               ;   in Loop: Header=BB21_29 Depth=1
	v_cmp_ne_u32_e32 vcc, 0, v14
	v_mov_b32_e32 v15, 0
	s_and_saveexec_b64 s[16:17], vcc
	s_cbranch_execz .LBB21_41
; %bb.32:                               ;   in Loop: Header=BB21_29 Depth=1
	v_bfe_u32 v14, v14, 23, 8
	v_sub_u32_e64 v15, s26, v14 clamp
	v_cmp_eq_u32_e32 vcc, 0, v14
	v_cndmask_b32_e32 v25, v15, v18, vcc
	v_add_u32_e32 v24, 0xffffff88, v14
	v_add_u32_e32 v14, 20, v25
	v_or_b32_e32 v21, 0x800000, v10
	v_lshlrev_b64 v[14:15], v14, -1
	v_cndmask_b32_e32 v10, v21, v10, vcc
	v_not_b32_e32 v15, v15
	v_not_b32_e32 v14, v14
	v_add_u32_e32 v21, 19, v25
	v_and_b32_e32 v15, 0, v15
	v_and_b32_e32 v14, v10, v14
	v_lshlrev_b64 v[22:23], v21, 1
	v_cmp_eq_u64_e64 s[0:1], v[14:15], v[22:23]
	v_lshrrev_b64 v[14:15], v25, v[10:11]
	v_cndmask_b32_e32 v10, v24, v19, vcc
	v_lshrrev_b32_e32 v21, 23, v14
	v_add3_u32 v21, v10, v25, v21
	v_and_b32_e32 v10, 0x100000, v14
	v_cmp_eq_u64_e32 vcc, 0, v[10:11]
	s_and_b64 vcc, vcc, s[0:1]
	v_subbrev_co_u32_e32 v10, vcc, 0, v14, vcc
	v_and_b32_e32 v10, 0xfffff, v10
	v_add_co_u32_e32 v14, vcc, v10, v14
	v_add_u32_e32 v22, -1, v21
	v_addc_co_u32_e32 v15, vcc, 0, v15, vcc
	v_cmp_ne_u32_e32 vcc, 0, v22
                                        ; implicit-def: $vgpr10
	s_and_saveexec_b64 s[0:1], vcc
	s_xor_b64 s[0:1], exec, s[0:1]
; %bb.33:                               ;   in Loop: Header=BB21_29 Depth=1
	v_and_b32_e32 v10, 0x1000000, v14
	v_cmp_eq_u64_e32 vcc, 0, v[10:11]
	v_cndmask_b32_e32 v10, v21, v22, vcc
	v_bfe_u32 v21, v14, 24, 1
	v_lshrrev_b64 v[14:15], v21, v[14:15]
; %bb.34:                               ;   in Loop: Header=BB21_29 Depth=1
	s_andn2_saveexec_b64 s[0:1], s[0:1]
; %bb.35:                               ;   in Loop: Header=BB21_29 Depth=1
	v_bfe_u32 v10, v14, 23, 1
; %bb.36:                               ;   in Loop: Header=BB21_29 Depth=1
	s_or_b64 exec, exec, s[0:1]
	v_lshrrev_b64 v[14:15], 20, v[14:15]
	v_cmp_gt_i32_e32 vcc, 16, v10
	v_cndmask_b32_e32 v15, 0, v15, vcc
	v_cndmask_b32_e32 v14, 7, v14, vcc
	v_cmp_ne_u32_e32 vcc, 0, v10
	v_cmp_ne_u64_e64 s[0:1], 0, v[14:15]
	s_or_b64 s[0:1], vcc, s[0:1]
                                        ; implicit-def: $vgpr15
	s_and_saveexec_b64 s[28:29], s[0:1]
	s_xor_b64 s[0:1], exec, s[28:29]
; %bb.37:                               ;   in Loop: Header=BB21_29 Depth=1
	v_min_i32_e32 v10, 15, v10
	v_lshl_or_b32 v10, v10, 3, v20
	v_and_or_b32 v15, v14, 7, v10
                                        ; implicit-def: $vgpr20
; %bb.38:                               ;   in Loop: Header=BB21_29 Depth=1
	s_andn2_saveexec_b64 s[0:1], s[0:1]
; %bb.39:                               ;   in Loop: Header=BB21_29 Depth=1
	v_mov_b32_e32 v15, v20
; %bb.40:                               ;   in Loop: Header=BB21_29 Depth=1
	s_or_b64 exec, exec, s[0:1]
.LBB21_41:                              ;   in Loop: Header=BB21_29 Depth=1
	s_or_b64 exec, exec, s[16:17]
.LBB21_42:                              ;   in Loop: Header=BB21_29 Depth=1
	s_andn2_saveexec_b64 s[0:1], s[14:15]
	s_or_b64 exec, exec, s[0:1]
                                        ; implicit-def: $vgpr14
.LBB21_43:                              ;   in Loop: Header=BB21_29 Depth=1
	s_andn2_saveexec_b64 s[0:1], s[12:13]
; %bb.44:                               ;   in Loop: Header=BB21_29 Depth=1
	v_or_b32_sdwa v14, v14, s27 dst_sel:DWORD dst_unused:UNUSED_PAD src0_sel:BYTE_3 src1_sel:DWORD
	v_cmp_eq_u64_e32 vcc, 0, v[10:11]
	v_cndmask_b32_e32 v15, v14, v15, vcc
; %bb.45:                               ;   in Loop: Header=BB21_29 Depth=1
	s_or_b64 exec, exec, s[0:1]
	v_and_b32_e32 v2, 0xffff0000, v2
	v_mul_f32_e32 v2, v1, v2
	v_bfe_u32 v10, v2, 16, 1
	v_add3_u32 v10, v2, v10, s24
	v_and_b32_e32 v10, 0xffff0000, v10
	v_cmp_o_f32_e32 vcc, v2, v2
	v_cndmask_b32_e32 v2, v17, v10, vcc
	v_and_b32_e32 v6, 0xffff0000, v6
	v_mul_f32_e32 v2, v2, v6
	v_bfe_u32 v6, v2, 16, 1
	v_add3_u32 v6, v2, v6, s24
	v_and_b32_e32 v6, 0xffff0000, v6
	v_cmp_o_f32_e32 vcc, v2, v2
	v_cndmask_b32_e32 v2, v17, v6, vcc
	v_mul_f32_e32 v2, v16, v2
	v_min_f32_e32 v2, 0x43e00000, v2
	v_max_f32_e32 v14, 0xc3e00000, v2
	v_and_b32_sdwa v2, v14, s25 dst_sel:DWORD dst_unused:UNUSED_PAD src0_sel:BYTE_3 src1_sel:DWORD
	v_and_b32_e32 v20, 0x7f800000, v14
	v_mov_b32_e32 v21, v11
	v_and_b32_e32 v10, 0x7fffff, v14
	v_or_b32_e32 v6, 0x7e, v2
	v_cmp_ne_u64_e32 vcc, s[6:7], v[20:21]
	global_store_byte v13, v15, s[2:3]
	s_and_saveexec_b64 s[0:1], vcc
	s_xor_b64 s[12:13], exec, s[0:1]
	s_cbranch_execz .LBB21_59
; %bb.46:                               ;   in Loop: Header=BB21_29 Depth=1
	v_and_b32_e32 v20, 0x7fffffff, v14
	v_mov_b32_e32 v21, v11
	v_cmp_gt_u64_e32 vcc, s[10:11], v[20:21]
	s_and_saveexec_b64 s[0:1], vcc
	s_xor_b64 s[14:15], exec, s[0:1]
	s_cbranch_execz .LBB21_58
; %bb.47:                               ;   in Loop: Header=BB21_29 Depth=1
	v_cmp_ne_u32_e32 vcc, 0, v14
	v_mov_b32_e32 v6, 0
	s_and_saveexec_b64 s[16:17], vcc
	s_cbranch_execz .LBB21_57
; %bb.48:                               ;   in Loop: Header=BB21_29 Depth=1
	v_bfe_u32 v6, v14, 23, 8
	v_sub_u32_e64 v14, s26, v6 clamp
	v_cmp_eq_u32_e32 vcc, 0, v6
	v_add_u32_e32 v22, 0xffffff88, v6
	v_cndmask_b32_e32 v6, v14, v18, vcc
	v_or_b32_e32 v15, 0x800000, v10
	v_add_u32_e32 v14, 20, v6
	v_cndmask_b32_e32 v10, v15, v10, vcc
	v_lshlrev_b64 v[14:15], v14, -1
	v_not_b32_e32 v15, v15
	v_not_b32_e32 v14, v14
	v_add_u32_e32 v20, 19, v6
	v_and_b32_e32 v15, 0, v15
	v_and_b32_e32 v14, v10, v14
	v_lshlrev_b64 v[20:21], v20, 1
	v_cmp_eq_u64_e64 s[0:1], v[14:15], v[20:21]
	v_lshrrev_b64 v[14:15], v6, v[10:11]
	v_cndmask_b32_e32 v10, v22, v19, vcc
	v_lshrrev_b32_e32 v20, 23, v14
	v_add3_u32 v6, v10, v6, v20
	v_and_b32_e32 v10, 0x100000, v14
	v_cmp_eq_u64_e32 vcc, 0, v[10:11]
	s_and_b64 vcc, vcc, s[0:1]
	v_subbrev_co_u32_e32 v10, vcc, 0, v14, vcc
	v_and_b32_e32 v10, 0xfffff, v10
	v_add_co_u32_e32 v14, vcc, v10, v14
	v_add_u32_e32 v20, -1, v6
	v_addc_co_u32_e32 v15, vcc, 0, v15, vcc
	v_cmp_ne_u32_e32 vcc, 0, v20
                                        ; implicit-def: $vgpr10
	s_and_saveexec_b64 s[0:1], vcc
	s_xor_b64 s[0:1], exec, s[0:1]
; %bb.49:                               ;   in Loop: Header=BB21_29 Depth=1
	v_and_b32_e32 v10, 0x1000000, v14
	v_cmp_eq_u64_e32 vcc, 0, v[10:11]
	v_cndmask_b32_e32 v10, v6, v20, vcc
	v_bfe_u32 v6, v14, 24, 1
	v_lshrrev_b64 v[14:15], v6, v[14:15]
; %bb.50:                               ;   in Loop: Header=BB21_29 Depth=1
	s_andn2_saveexec_b64 s[0:1], s[0:1]
; %bb.51:                               ;   in Loop: Header=BB21_29 Depth=1
	v_bfe_u32 v10, v14, 23, 1
; %bb.52:                               ;   in Loop: Header=BB21_29 Depth=1
	s_or_b64 exec, exec, s[0:1]
	v_lshrrev_b64 v[14:15], 20, v[14:15]
	v_cmp_gt_i32_e32 vcc, 16, v10
	v_cndmask_b32_e32 v15, 0, v15, vcc
	v_cndmask_b32_e32 v14, 7, v14, vcc
	v_cmp_ne_u32_e32 vcc, 0, v10
	v_cmp_ne_u64_e64 s[0:1], 0, v[14:15]
	s_or_b64 s[0:1], vcc, s[0:1]
                                        ; implicit-def: $vgpr6
	s_and_saveexec_b64 s[28:29], s[0:1]
	s_xor_b64 s[0:1], exec, s[28:29]
; %bb.53:                               ;   in Loop: Header=BB21_29 Depth=1
	v_min_i32_e32 v6, 15, v10
	v_lshl_or_b32 v2, v6, 3, v2
	v_and_or_b32 v6, v14, 7, v2
                                        ; implicit-def: $vgpr2
; %bb.54:                               ;   in Loop: Header=BB21_29 Depth=1
	s_andn2_saveexec_b64 s[0:1], s[0:1]
; %bb.55:                               ;   in Loop: Header=BB21_29 Depth=1
	v_mov_b32_e32 v6, v2
; %bb.56:                               ;   in Loop: Header=BB21_29 Depth=1
	s_or_b64 exec, exec, s[0:1]
.LBB21_57:                              ;   in Loop: Header=BB21_29 Depth=1
	s_or_b64 exec, exec, s[16:17]
.LBB21_58:                              ;   in Loop: Header=BB21_29 Depth=1
	s_andn2_saveexec_b64 s[0:1], s[14:15]
	s_or_b64 exec, exec, s[0:1]
                                        ; implicit-def: $vgpr14
.LBB21_59:                              ;   in Loop: Header=BB21_29 Depth=1
	s_andn2_saveexec_b64 s[0:1], s[12:13]
; %bb.60:                               ;   in Loop: Header=BB21_29 Depth=1
	v_or_b32_sdwa v2, v14, s27 dst_sel:DWORD dst_unused:UNUSED_PAD src0_sel:BYTE_3 src1_sel:DWORD
	v_cmp_eq_u64_e32 vcc, 0, v[10:11]
	v_cndmask_b32_e32 v6, v2, v6, vcc
; %bb.61:                               ;   in Loop: Header=BB21_29 Depth=1
	s_or_b64 exec, exec, s[0:1]
	v_add_u32_e32 v2, 1, v13
	global_store_byte v2, v6, s[2:3]
	v_lshlrev_b32_e32 v2, 16, v3
	v_mul_f32_e32 v2, v1, v2
	v_bfe_u32 v6, v2, 16, 1
	v_add3_u32 v6, v2, v6, s24
	v_and_b32_e32 v6, 0xffff0000, v6
	v_cmp_o_f32_e32 vcc, v2, v2
	v_cndmask_b32_e32 v2, v17, v6, vcc
	v_lshlrev_b32_e32 v6, 16, v7
	v_mul_f32_e32 v2, v2, v6
	v_bfe_u32 v6, v2, 16, 1
	v_add3_u32 v6, v2, v6, s24
	v_and_b32_e32 v6, 0xffff0000, v6
	v_cmp_o_f32_e32 vcc, v2, v2
	v_cndmask_b32_e32 v2, v17, v6, vcc
	v_mul_f32_e32 v2, v16, v2
	v_min_f32_e32 v2, 0x43e00000, v2
	v_max_f32_e32 v14, 0xc3e00000, v2
	v_and_b32_sdwa v2, v14, s25 dst_sel:DWORD dst_unused:UNUSED_PAD src0_sel:BYTE_3 src1_sel:DWORD
	v_and_b32_e32 v20, 0x7f800000, v14
	v_mov_b32_e32 v21, v11
	v_and_b32_e32 v10, 0x7fffff, v14
	v_or_b32_e32 v6, 0x7e, v2
	v_cmp_ne_u64_e32 vcc, s[6:7], v[20:21]
	s_and_saveexec_b64 s[0:1], vcc
	s_xor_b64 s[12:13], exec, s[0:1]
	s_cbranch_execz .LBB21_75
; %bb.62:                               ;   in Loop: Header=BB21_29 Depth=1
	v_and_b32_e32 v20, 0x7fffffff, v14
	v_mov_b32_e32 v21, v11
	v_cmp_gt_u64_e32 vcc, s[10:11], v[20:21]
	s_and_saveexec_b64 s[0:1], vcc
	s_xor_b64 s[14:15], exec, s[0:1]
	s_cbranch_execz .LBB21_74
; %bb.63:                               ;   in Loop: Header=BB21_29 Depth=1
	v_cmp_ne_u32_e32 vcc, 0, v14
	v_mov_b32_e32 v6, 0
	s_and_saveexec_b64 s[16:17], vcc
	s_cbranch_execz .LBB21_73
; %bb.64:                               ;   in Loop: Header=BB21_29 Depth=1
	v_bfe_u32 v6, v14, 23, 8
	v_sub_u32_e64 v14, s26, v6 clamp
	v_cmp_eq_u32_e32 vcc, 0, v6
	v_add_u32_e32 v22, 0xffffff88, v6
	v_cndmask_b32_e32 v6, v14, v18, vcc
	v_or_b32_e32 v15, 0x800000, v10
	v_add_u32_e32 v14, 20, v6
	v_cndmask_b32_e32 v10, v15, v10, vcc
	v_lshlrev_b64 v[14:15], v14, -1
	v_not_b32_e32 v15, v15
	v_not_b32_e32 v14, v14
	v_add_u32_e32 v20, 19, v6
	v_and_b32_e32 v15, 0, v15
	v_and_b32_e32 v14, v10, v14
	v_lshlrev_b64 v[20:21], v20, 1
	v_cmp_eq_u64_e64 s[0:1], v[14:15], v[20:21]
	v_lshrrev_b64 v[14:15], v6, v[10:11]
	v_cndmask_b32_e32 v10, v22, v19, vcc
	v_lshrrev_b32_e32 v20, 23, v14
	v_add3_u32 v6, v10, v6, v20
	v_and_b32_e32 v10, 0x100000, v14
	v_cmp_eq_u64_e32 vcc, 0, v[10:11]
	s_and_b64 vcc, vcc, s[0:1]
	v_subbrev_co_u32_e32 v10, vcc, 0, v14, vcc
	v_and_b32_e32 v10, 0xfffff, v10
	v_add_co_u32_e32 v14, vcc, v10, v14
	v_add_u32_e32 v20, -1, v6
	v_addc_co_u32_e32 v15, vcc, 0, v15, vcc
	v_cmp_ne_u32_e32 vcc, 0, v20
                                        ; implicit-def: $vgpr10
	s_and_saveexec_b64 s[0:1], vcc
	s_xor_b64 s[0:1], exec, s[0:1]
; %bb.65:                               ;   in Loop: Header=BB21_29 Depth=1
	v_and_b32_e32 v10, 0x1000000, v14
	v_cmp_eq_u64_e32 vcc, 0, v[10:11]
	v_cndmask_b32_e32 v10, v6, v20, vcc
	v_bfe_u32 v6, v14, 24, 1
	v_lshrrev_b64 v[14:15], v6, v[14:15]
; %bb.66:                               ;   in Loop: Header=BB21_29 Depth=1
	s_andn2_saveexec_b64 s[0:1], s[0:1]
; %bb.67:                               ;   in Loop: Header=BB21_29 Depth=1
	v_bfe_u32 v10, v14, 23, 1
; %bb.68:                               ;   in Loop: Header=BB21_29 Depth=1
	s_or_b64 exec, exec, s[0:1]
	v_lshrrev_b64 v[14:15], 20, v[14:15]
	v_cmp_gt_i32_e32 vcc, 16, v10
	v_cndmask_b32_e32 v15, 0, v15, vcc
	v_cndmask_b32_e32 v14, 7, v14, vcc
	v_cmp_ne_u32_e32 vcc, 0, v10
	v_cmp_ne_u64_e64 s[0:1], 0, v[14:15]
	s_or_b64 s[0:1], vcc, s[0:1]
                                        ; implicit-def: $vgpr6
	s_and_saveexec_b64 s[28:29], s[0:1]
	s_xor_b64 s[0:1], exec, s[28:29]
; %bb.69:                               ;   in Loop: Header=BB21_29 Depth=1
	v_min_i32_e32 v6, 15, v10
	v_lshl_or_b32 v2, v6, 3, v2
	v_and_or_b32 v6, v14, 7, v2
                                        ; implicit-def: $vgpr2
; %bb.70:                               ;   in Loop: Header=BB21_29 Depth=1
	s_andn2_saveexec_b64 s[0:1], s[0:1]
; %bb.71:                               ;   in Loop: Header=BB21_29 Depth=1
	v_mov_b32_e32 v6, v2
; %bb.72:                               ;   in Loop: Header=BB21_29 Depth=1
	s_or_b64 exec, exec, s[0:1]
.LBB21_73:                              ;   in Loop: Header=BB21_29 Depth=1
	s_or_b64 exec, exec, s[16:17]
.LBB21_74:                              ;   in Loop: Header=BB21_29 Depth=1
	s_andn2_saveexec_b64 s[0:1], s[14:15]
	s_or_b64 exec, exec, s[0:1]
                                        ; implicit-def: $vgpr14
.LBB21_75:                              ;   in Loop: Header=BB21_29 Depth=1
	s_andn2_saveexec_b64 s[0:1], s[12:13]
; %bb.76:                               ;   in Loop: Header=BB21_29 Depth=1
	v_or_b32_sdwa v2, v14, s27 dst_sel:DWORD dst_unused:UNUSED_PAD src0_sel:BYTE_3 src1_sel:DWORD
	v_cmp_eq_u64_e32 vcc, 0, v[10:11]
	v_cndmask_b32_e32 v6, v2, v6, vcc
; %bb.77:                               ;   in Loop: Header=BB21_29 Depth=1
	s_or_b64 exec, exec, s[0:1]
	v_add_u32_e32 v2, 2, v13
	global_store_byte v2, v6, s[2:3]
	v_and_b32_e32 v2, 0xffff0000, v3
	v_mul_f32_e32 v2, v1, v2
	v_bfe_u32 v3, v2, 16, 1
	v_add3_u32 v3, v2, v3, s24
	v_and_b32_e32 v3, 0xffff0000, v3
	v_cmp_o_f32_e32 vcc, v2, v2
	v_cndmask_b32_e32 v2, v17, v3, vcc
	v_and_b32_e32 v3, 0xffff0000, v7
	v_mul_f32_e32 v2, v2, v3
	v_bfe_u32 v3, v2, 16, 1
	v_add3_u32 v3, v2, v3, s24
	v_and_b32_e32 v3, 0xffff0000, v3
	v_cmp_o_f32_e32 vcc, v2, v2
	v_cndmask_b32_e32 v2, v17, v3, vcc
	v_mul_f32_e32 v2, v16, v2
	v_min_f32_e32 v2, 0x43e00000, v2
	v_max_f32_e32 v2, 0xc3e00000, v2
	v_and_b32_sdwa v6, v2, s25 dst_sel:DWORD dst_unused:UNUSED_PAD src0_sel:BYTE_3 src1_sel:DWORD
	v_and_b32_e32 v14, 0x7f800000, v2
	v_mov_b32_e32 v15, v11
	v_and_b32_e32 v10, 0x7fffff, v2
	v_or_b32_e32 v3, 0x7e, v6
	v_cmp_ne_u64_e32 vcc, s[6:7], v[14:15]
	s_and_saveexec_b64 s[0:1], vcc
	s_xor_b64 s[12:13], exec, s[0:1]
	s_cbranch_execz .LBB21_91
; %bb.78:                               ;   in Loop: Header=BB21_29 Depth=1
	v_and_b32_e32 v14, 0x7fffffff, v2
	v_mov_b32_e32 v15, v11
	v_cmp_gt_u64_e32 vcc, s[10:11], v[14:15]
	s_and_saveexec_b64 s[0:1], vcc
	s_xor_b64 s[14:15], exec, s[0:1]
	s_cbranch_execz .LBB21_90
; %bb.79:                               ;   in Loop: Header=BB21_29 Depth=1
	v_cmp_ne_u32_e32 vcc, 0, v2
	v_mov_b32_e32 v3, 0
	s_and_saveexec_b64 s[16:17], vcc
	s_cbranch_execz .LBB21_89
; %bb.80:                               ;   in Loop: Header=BB21_29 Depth=1
	v_bfe_u32 v2, v2, 23, 8
	v_sub_u32_e64 v3, s26, v2 clamp
	v_cmp_eq_u32_e32 vcc, 0, v2
	v_cndmask_b32_e32 v21, v3, v18, vcc
	v_add_u32_e32 v20, 0xffffff88, v2
	v_add_u32_e32 v2, 20, v21
	v_or_b32_e32 v7, 0x800000, v10
	v_lshlrev_b64 v[2:3], v2, -1
	v_cndmask_b32_e32 v10, v7, v10, vcc
	v_not_b32_e32 v3, v3
	v_not_b32_e32 v2, v2
	v_add_u32_e32 v7, 19, v21
	v_and_b32_e32 v3, 0, v3
	v_and_b32_e32 v2, v10, v2
	v_lshlrev_b64 v[14:15], v7, 1
	v_cmp_eq_u64_e64 s[0:1], v[2:3], v[14:15]
	v_lshrrev_b64 v[2:3], v21, v[10:11]
	v_cndmask_b32_e32 v7, v20, v19, vcc
	v_lshrrev_b32_e32 v10, 23, v2
	v_add3_u32 v14, v7, v21, v10
	v_and_b32_e32 v10, 0x100000, v2
	v_cmp_eq_u64_e32 vcc, 0, v[10:11]
	s_and_b64 vcc, vcc, s[0:1]
	v_subbrev_co_u32_e32 v7, vcc, 0, v2, vcc
	v_and_b32_e32 v7, 0xfffff, v7
	v_add_co_u32_e32 v2, vcc, v7, v2
	v_add_u32_e32 v15, -1, v14
	v_addc_co_u32_e32 v3, vcc, 0, v3, vcc
	v_cmp_ne_u32_e32 vcc, 0, v15
                                        ; implicit-def: $vgpr7
	s_and_saveexec_b64 s[0:1], vcc
	s_xor_b64 s[0:1], exec, s[0:1]
; %bb.81:                               ;   in Loop: Header=BB21_29 Depth=1
	v_and_b32_e32 v10, 0x1000000, v2
	v_cmp_eq_u64_e32 vcc, 0, v[10:11]
	v_bfe_u32 v10, v2, 24, 1
	v_cndmask_b32_e32 v7, v14, v15, vcc
	v_lshrrev_b64 v[2:3], v10, v[2:3]
; %bb.82:                               ;   in Loop: Header=BB21_29 Depth=1
	s_andn2_saveexec_b64 s[0:1], s[0:1]
; %bb.83:                               ;   in Loop: Header=BB21_29 Depth=1
	v_bfe_u32 v7, v2, 23, 1
; %bb.84:                               ;   in Loop: Header=BB21_29 Depth=1
	s_or_b64 exec, exec, s[0:1]
	v_lshrrev_b64 v[2:3], 20, v[2:3]
	v_cmp_gt_i32_e32 vcc, 16, v7
	v_cndmask_b32_e32 v3, 0, v3, vcc
	v_cndmask_b32_e32 v2, 7, v2, vcc
	v_cmp_ne_u32_e32 vcc, 0, v7
	v_cmp_ne_u64_e64 s[0:1], 0, v[2:3]
	s_or_b64 s[0:1], vcc, s[0:1]
                                        ; implicit-def: $vgpr3
	s_and_saveexec_b64 s[28:29], s[0:1]
	s_xor_b64 s[0:1], exec, s[28:29]
; %bb.85:                               ;   in Loop: Header=BB21_29 Depth=1
	v_min_i32_e32 v3, 15, v7
	v_lshl_or_b32 v3, v3, 3, v6
	v_and_or_b32 v3, v2, 7, v3
                                        ; implicit-def: $vgpr6
; %bb.86:                               ;   in Loop: Header=BB21_29 Depth=1
	s_andn2_saveexec_b64 s[0:1], s[0:1]
; %bb.87:                               ;   in Loop: Header=BB21_29 Depth=1
	v_mov_b32_e32 v3, v6
; %bb.88:                               ;   in Loop: Header=BB21_29 Depth=1
	s_or_b64 exec, exec, s[0:1]
.LBB21_89:                              ;   in Loop: Header=BB21_29 Depth=1
	s_or_b64 exec, exec, s[16:17]
.LBB21_90:                              ;   in Loop: Header=BB21_29 Depth=1
	s_andn2_saveexec_b64 s[0:1], s[14:15]
	s_or_b64 exec, exec, s[0:1]
                                        ; implicit-def: $vgpr2
.LBB21_91:                              ;   in Loop: Header=BB21_29 Depth=1
	s_andn2_saveexec_b64 s[0:1], s[12:13]
; %bb.92:                               ;   in Loop: Header=BB21_29 Depth=1
	v_or_b32_sdwa v2, v2, s27 dst_sel:DWORD dst_unused:UNUSED_PAD src0_sel:BYTE_3 src1_sel:DWORD
	v_cmp_eq_u64_e32 vcc, 0, v[10:11]
	v_cndmask_b32_e32 v3, v2, v3, vcc
; %bb.93:                               ;   in Loop: Header=BB21_29 Depth=1
	s_or_b64 exec, exec, s[0:1]
	v_add_u32_e32 v2, 3, v13
	global_store_byte v2, v3, s[2:3]
	v_lshlrev_b32_e32 v2, 16, v4
	v_mul_f32_e32 v2, v1, v2
	v_bfe_u32 v3, v2, 16, 1
	v_add3_u32 v3, v2, v3, s24
	v_and_b32_e32 v3, 0xffff0000, v3
	v_cmp_o_f32_e32 vcc, v2, v2
	v_cndmask_b32_e32 v2, v17, v3, vcc
	v_lshlrev_b32_e32 v3, 16, v8
	v_mul_f32_e32 v2, v2, v3
	v_bfe_u32 v3, v2, 16, 1
	v_add3_u32 v3, v2, v3, s24
	v_and_b32_e32 v3, 0xffff0000, v3
	v_cmp_o_f32_e32 vcc, v2, v2
	v_cndmask_b32_e32 v2, v17, v3, vcc
	v_mul_f32_e32 v2, v16, v2
	v_min_f32_e32 v2, 0x43e00000, v2
	v_max_f32_e32 v2, 0xc3e00000, v2
	v_and_b32_sdwa v6, v2, s25 dst_sel:DWORD dst_unused:UNUSED_PAD src0_sel:BYTE_3 src1_sel:DWORD
	v_and_b32_e32 v14, 0x7f800000, v2
	v_mov_b32_e32 v15, v11
	v_and_b32_e32 v10, 0x7fffff, v2
	v_or_b32_e32 v3, 0x7e, v6
	v_cmp_ne_u64_e32 vcc, s[6:7], v[14:15]
	s_and_saveexec_b64 s[0:1], vcc
	s_xor_b64 s[12:13], exec, s[0:1]
	s_cbranch_execz .LBB21_107
; %bb.94:                               ;   in Loop: Header=BB21_29 Depth=1
	v_and_b32_e32 v14, 0x7fffffff, v2
	v_mov_b32_e32 v15, v11
	v_cmp_gt_u64_e32 vcc, s[10:11], v[14:15]
	s_and_saveexec_b64 s[0:1], vcc
	s_xor_b64 s[14:15], exec, s[0:1]
	s_cbranch_execz .LBB21_106
; %bb.95:                               ;   in Loop: Header=BB21_29 Depth=1
	v_cmp_ne_u32_e32 vcc, 0, v2
	v_mov_b32_e32 v3, 0
	s_and_saveexec_b64 s[16:17], vcc
	s_cbranch_execz .LBB21_105
; %bb.96:                               ;   in Loop: Header=BB21_29 Depth=1
	v_bfe_u32 v2, v2, 23, 8
	v_sub_u32_e64 v3, s26, v2 clamp
	v_cmp_eq_u32_e32 vcc, 0, v2
	v_cndmask_b32_e32 v21, v3, v18, vcc
	v_add_u32_e32 v20, 0xffffff88, v2
	v_add_u32_e32 v2, 20, v21
	v_or_b32_e32 v7, 0x800000, v10
	v_lshlrev_b64 v[2:3], v2, -1
	v_cndmask_b32_e32 v10, v7, v10, vcc
	v_not_b32_e32 v3, v3
	v_not_b32_e32 v2, v2
	v_add_u32_e32 v7, 19, v21
	v_and_b32_e32 v3, 0, v3
	v_and_b32_e32 v2, v10, v2
	v_lshlrev_b64 v[14:15], v7, 1
	v_cmp_eq_u64_e64 s[0:1], v[2:3], v[14:15]
	v_lshrrev_b64 v[2:3], v21, v[10:11]
	v_cndmask_b32_e32 v7, v20, v19, vcc
	v_lshrrev_b32_e32 v10, 23, v2
	v_add3_u32 v14, v7, v21, v10
	v_and_b32_e32 v10, 0x100000, v2
	v_cmp_eq_u64_e32 vcc, 0, v[10:11]
	s_and_b64 vcc, vcc, s[0:1]
	v_subbrev_co_u32_e32 v7, vcc, 0, v2, vcc
	v_and_b32_e32 v7, 0xfffff, v7
	v_add_co_u32_e32 v2, vcc, v7, v2
	v_add_u32_e32 v15, -1, v14
	v_addc_co_u32_e32 v3, vcc, 0, v3, vcc
	v_cmp_ne_u32_e32 vcc, 0, v15
                                        ; implicit-def: $vgpr7
	s_and_saveexec_b64 s[0:1], vcc
	s_xor_b64 s[0:1], exec, s[0:1]
; %bb.97:                               ;   in Loop: Header=BB21_29 Depth=1
	v_and_b32_e32 v10, 0x1000000, v2
	v_cmp_eq_u64_e32 vcc, 0, v[10:11]
	v_bfe_u32 v10, v2, 24, 1
	v_cndmask_b32_e32 v7, v14, v15, vcc
	v_lshrrev_b64 v[2:3], v10, v[2:3]
; %bb.98:                               ;   in Loop: Header=BB21_29 Depth=1
	s_andn2_saveexec_b64 s[0:1], s[0:1]
; %bb.99:                               ;   in Loop: Header=BB21_29 Depth=1
	v_bfe_u32 v7, v2, 23, 1
; %bb.100:                              ;   in Loop: Header=BB21_29 Depth=1
	s_or_b64 exec, exec, s[0:1]
	v_lshrrev_b64 v[2:3], 20, v[2:3]
	v_cmp_gt_i32_e32 vcc, 16, v7
	v_cndmask_b32_e32 v3, 0, v3, vcc
	v_cndmask_b32_e32 v2, 7, v2, vcc
	v_cmp_ne_u32_e32 vcc, 0, v7
	v_cmp_ne_u64_e64 s[0:1], 0, v[2:3]
	s_or_b64 s[0:1], vcc, s[0:1]
                                        ; implicit-def: $vgpr3
	s_and_saveexec_b64 s[28:29], s[0:1]
	s_xor_b64 s[0:1], exec, s[28:29]
; %bb.101:                              ;   in Loop: Header=BB21_29 Depth=1
	v_min_i32_e32 v3, 15, v7
	v_lshl_or_b32 v3, v3, 3, v6
	v_and_or_b32 v3, v2, 7, v3
                                        ; implicit-def: $vgpr6
; %bb.102:                              ;   in Loop: Header=BB21_29 Depth=1
	s_andn2_saveexec_b64 s[0:1], s[0:1]
; %bb.103:                              ;   in Loop: Header=BB21_29 Depth=1
	v_mov_b32_e32 v3, v6
; %bb.104:                              ;   in Loop: Header=BB21_29 Depth=1
	s_or_b64 exec, exec, s[0:1]
.LBB21_105:                             ;   in Loop: Header=BB21_29 Depth=1
	s_or_b64 exec, exec, s[16:17]
.LBB21_106:                             ;   in Loop: Header=BB21_29 Depth=1
	s_andn2_saveexec_b64 s[0:1], s[14:15]
	s_or_b64 exec, exec, s[0:1]
                                        ; implicit-def: $vgpr2
.LBB21_107:                             ;   in Loop: Header=BB21_29 Depth=1
	s_andn2_saveexec_b64 s[0:1], s[12:13]
; %bb.108:                              ;   in Loop: Header=BB21_29 Depth=1
	v_or_b32_sdwa v2, v2, s27 dst_sel:DWORD dst_unused:UNUSED_PAD src0_sel:BYTE_3 src1_sel:DWORD
	v_cmp_eq_u64_e32 vcc, 0, v[10:11]
	v_cndmask_b32_e32 v3, v2, v3, vcc
; %bb.109:                              ;   in Loop: Header=BB21_29 Depth=1
	s_or_b64 exec, exec, s[0:1]
	v_add_u32_e32 v2, 4, v13
	global_store_byte v2, v3, s[2:3]
	v_and_b32_e32 v2, 0xffff0000, v4
	v_mul_f32_e32 v2, v1, v2
	v_bfe_u32 v3, v2, 16, 1
	v_add3_u32 v3, v2, v3, s24
	v_and_b32_e32 v3, 0xffff0000, v3
	v_cmp_o_f32_e32 vcc, v2, v2
	v_cndmask_b32_e32 v2, v17, v3, vcc
	v_and_b32_e32 v3, 0xffff0000, v8
	v_mul_f32_e32 v2, v2, v3
	v_bfe_u32 v3, v2, 16, 1
	v_add3_u32 v3, v2, v3, s24
	v_and_b32_e32 v3, 0xffff0000, v3
	v_cmp_o_f32_e32 vcc, v2, v2
	v_cndmask_b32_e32 v2, v17, v3, vcc
	v_mul_f32_e32 v2, v16, v2
	v_min_f32_e32 v2, 0x43e00000, v2
	v_max_f32_e32 v2, 0xc3e00000, v2
	v_and_b32_sdwa v4, v2, s25 dst_sel:DWORD dst_unused:UNUSED_PAD src0_sel:BYTE_3 src1_sel:DWORD
	v_and_b32_e32 v6, 0x7f800000, v2
	v_mov_b32_e32 v7, v11
	v_and_b32_e32 v10, 0x7fffff, v2
	v_or_b32_e32 v3, 0x7e, v4
	v_cmp_ne_u64_e32 vcc, s[6:7], v[6:7]
	s_and_saveexec_b64 s[0:1], vcc
	s_xor_b64 s[12:13], exec, s[0:1]
	s_cbranch_execz .LBB21_123
; %bb.110:                              ;   in Loop: Header=BB21_29 Depth=1
	v_and_b32_e32 v6, 0x7fffffff, v2
	v_mov_b32_e32 v7, v11
	v_cmp_gt_u64_e32 vcc, s[10:11], v[6:7]
	s_and_saveexec_b64 s[0:1], vcc
	s_xor_b64 s[14:15], exec, s[0:1]
	s_cbranch_execz .LBB21_122
; %bb.111:                              ;   in Loop: Header=BB21_29 Depth=1
	v_cmp_ne_u32_e32 vcc, 0, v2
	v_mov_b32_e32 v3, 0
	s_and_saveexec_b64 s[16:17], vcc
	s_cbranch_execz .LBB21_121
; %bb.112:                              ;   in Loop: Header=BB21_29 Depth=1
	v_bfe_u32 v2, v2, 23, 8
	v_sub_u32_e64 v3, s26, v2 clamp
	v_cmp_eq_u32_e32 vcc, 0, v2
	v_cndmask_b32_e32 v14, v3, v18, vcc
	v_add_u32_e32 v8, 0xffffff88, v2
	v_add_u32_e32 v2, 20, v14
	v_or_b32_e32 v6, 0x800000, v10
	v_lshlrev_b64 v[2:3], v2, -1
	v_cndmask_b32_e32 v10, v6, v10, vcc
	v_not_b32_e32 v3, v3
	v_not_b32_e32 v2, v2
	v_add_u32_e32 v6, 19, v14
	v_and_b32_e32 v3, 0, v3
	v_and_b32_e32 v2, v10, v2
	v_lshlrev_b64 v[6:7], v6, 1
	v_cmp_eq_u64_e64 s[0:1], v[2:3], v[6:7]
	v_lshrrev_b64 v[2:3], v14, v[10:11]
	v_and_b32_e32 v10, 0x100000, v2
	v_cndmask_b32_e32 v6, v8, v19, vcc
	v_cmp_eq_u64_e32 vcc, 0, v[10:11]
	v_lshrrev_b32_e32 v7, 23, v2
	s_and_b64 vcc, vcc, s[0:1]
	v_add3_u32 v7, v6, v14, v7
	v_subbrev_co_u32_e32 v6, vcc, 0, v2, vcc
	v_and_b32_e32 v6, 0xfffff, v6
	v_add_co_u32_e32 v2, vcc, v6, v2
	v_add_u32_e32 v8, -1, v7
	v_addc_co_u32_e32 v3, vcc, 0, v3, vcc
	v_cmp_ne_u32_e32 vcc, 0, v8
                                        ; implicit-def: $vgpr6
	s_and_saveexec_b64 s[0:1], vcc
	s_xor_b64 s[0:1], exec, s[0:1]
; %bb.113:                              ;   in Loop: Header=BB21_29 Depth=1
	v_and_b32_e32 v10, 0x1000000, v2
	v_cmp_eq_u64_e32 vcc, 0, v[10:11]
	v_cndmask_b32_e32 v6, v7, v8, vcc
	v_bfe_u32 v7, v2, 24, 1
	v_lshrrev_b64 v[2:3], v7, v[2:3]
; %bb.114:                              ;   in Loop: Header=BB21_29 Depth=1
	s_andn2_saveexec_b64 s[0:1], s[0:1]
; %bb.115:                              ;   in Loop: Header=BB21_29 Depth=1
	v_bfe_u32 v6, v2, 23, 1
; %bb.116:                              ;   in Loop: Header=BB21_29 Depth=1
	s_or_b64 exec, exec, s[0:1]
	v_lshrrev_b64 v[2:3], 20, v[2:3]
	v_cmp_gt_i32_e32 vcc, 16, v6
	v_cndmask_b32_e32 v3, 0, v3, vcc
	v_cndmask_b32_e32 v2, 7, v2, vcc
	v_cmp_ne_u32_e32 vcc, 0, v6
	v_cmp_ne_u64_e64 s[0:1], 0, v[2:3]
	s_or_b64 s[0:1], vcc, s[0:1]
                                        ; implicit-def: $vgpr3
	s_and_saveexec_b64 s[28:29], s[0:1]
	s_xor_b64 s[0:1], exec, s[28:29]
; %bb.117:                              ;   in Loop: Header=BB21_29 Depth=1
	v_min_i32_e32 v3, 15, v6
	v_lshl_or_b32 v3, v3, 3, v4
	v_and_or_b32 v3, v2, 7, v3
                                        ; implicit-def: $vgpr4
; %bb.118:                              ;   in Loop: Header=BB21_29 Depth=1
	s_andn2_saveexec_b64 s[0:1], s[0:1]
; %bb.119:                              ;   in Loop: Header=BB21_29 Depth=1
	v_mov_b32_e32 v3, v4
; %bb.120:                              ;   in Loop: Header=BB21_29 Depth=1
	s_or_b64 exec, exec, s[0:1]
.LBB21_121:                             ;   in Loop: Header=BB21_29 Depth=1
	s_or_b64 exec, exec, s[16:17]
.LBB21_122:                             ;   in Loop: Header=BB21_29 Depth=1
	s_andn2_saveexec_b64 s[0:1], s[14:15]
	s_or_b64 exec, exec, s[0:1]
                                        ; implicit-def: $vgpr2
.LBB21_123:                             ;   in Loop: Header=BB21_29 Depth=1
	s_andn2_saveexec_b64 s[0:1], s[12:13]
; %bb.124:                              ;   in Loop: Header=BB21_29 Depth=1
	v_or_b32_sdwa v2, v2, s27 dst_sel:DWORD dst_unused:UNUSED_PAD src0_sel:BYTE_3 src1_sel:DWORD
	v_cmp_eq_u64_e32 vcc, 0, v[10:11]
	v_cndmask_b32_e32 v3, v2, v3, vcc
; %bb.125:                              ;   in Loop: Header=BB21_29 Depth=1
	s_or_b64 exec, exec, s[0:1]
	v_add_u32_e32 v2, 5, v13
	global_store_byte v2, v3, s[2:3]
	v_lshlrev_b32_e32 v2, 16, v5
	v_mul_f32_e32 v2, v1, v2
	v_bfe_u32 v3, v2, 16, 1
	v_add3_u32 v3, v2, v3, s24
	v_and_b32_e32 v3, 0xffff0000, v3
	v_cmp_o_f32_e32 vcc, v2, v2
	v_cndmask_b32_e32 v2, v17, v3, vcc
	v_lshlrev_b32_e32 v3, 16, v9
	v_mul_f32_e32 v2, v2, v3
	v_bfe_u32 v3, v2, 16, 1
	v_add3_u32 v3, v2, v3, s24
	v_and_b32_e32 v3, 0xffff0000, v3
	v_cmp_o_f32_e32 vcc, v2, v2
	v_cndmask_b32_e32 v2, v17, v3, vcc
	v_mul_f32_e32 v2, v16, v2
	v_min_f32_e32 v2, 0x43e00000, v2
	v_max_f32_e32 v2, 0xc3e00000, v2
	v_and_b32_sdwa v4, v2, s25 dst_sel:DWORD dst_unused:UNUSED_PAD src0_sel:BYTE_3 src1_sel:DWORD
	v_and_b32_e32 v6, 0x7f800000, v2
	v_mov_b32_e32 v7, v11
	v_and_b32_e32 v10, 0x7fffff, v2
	v_or_b32_e32 v3, 0x7e, v4
	v_cmp_ne_u64_e32 vcc, s[6:7], v[6:7]
	s_and_saveexec_b64 s[0:1], vcc
	s_xor_b64 s[12:13], exec, s[0:1]
	s_cbranch_execz .LBB21_139
; %bb.126:                              ;   in Loop: Header=BB21_29 Depth=1
	v_and_b32_e32 v6, 0x7fffffff, v2
	v_mov_b32_e32 v7, v11
	v_cmp_gt_u64_e32 vcc, s[10:11], v[6:7]
	s_and_saveexec_b64 s[0:1], vcc
	s_xor_b64 s[14:15], exec, s[0:1]
	s_cbranch_execz .LBB21_138
; %bb.127:                              ;   in Loop: Header=BB21_29 Depth=1
	v_cmp_ne_u32_e32 vcc, 0, v2
	v_mov_b32_e32 v3, 0
	s_and_saveexec_b64 s[16:17], vcc
	s_cbranch_execz .LBB21_137
; %bb.128:                              ;   in Loop: Header=BB21_29 Depth=1
	v_bfe_u32 v2, v2, 23, 8
	v_sub_u32_e64 v3, s26, v2 clamp
	v_cmp_eq_u32_e32 vcc, 0, v2
	v_cndmask_b32_e32 v14, v3, v18, vcc
	v_add_u32_e32 v8, 0xffffff88, v2
	v_add_u32_e32 v2, 20, v14
	v_or_b32_e32 v6, 0x800000, v10
	v_lshlrev_b64 v[2:3], v2, -1
	v_cndmask_b32_e32 v10, v6, v10, vcc
	v_not_b32_e32 v3, v3
	v_not_b32_e32 v2, v2
	v_add_u32_e32 v6, 19, v14
	v_and_b32_e32 v3, 0, v3
	v_and_b32_e32 v2, v10, v2
	v_lshlrev_b64 v[6:7], v6, 1
	v_cmp_eq_u64_e64 s[0:1], v[2:3], v[6:7]
	v_lshrrev_b64 v[2:3], v14, v[10:11]
	v_and_b32_e32 v10, 0x100000, v2
	v_cndmask_b32_e32 v6, v8, v19, vcc
	v_cmp_eq_u64_e32 vcc, 0, v[10:11]
	v_lshrrev_b32_e32 v7, 23, v2
	s_and_b64 vcc, vcc, s[0:1]
	v_add3_u32 v7, v6, v14, v7
	v_subbrev_co_u32_e32 v6, vcc, 0, v2, vcc
	v_and_b32_e32 v6, 0xfffff, v6
	v_add_co_u32_e32 v2, vcc, v6, v2
	v_add_u32_e32 v8, -1, v7
	v_addc_co_u32_e32 v3, vcc, 0, v3, vcc
	v_cmp_ne_u32_e32 vcc, 0, v8
                                        ; implicit-def: $vgpr6
	s_and_saveexec_b64 s[0:1], vcc
	s_xor_b64 s[0:1], exec, s[0:1]
; %bb.129:                              ;   in Loop: Header=BB21_29 Depth=1
	v_and_b32_e32 v10, 0x1000000, v2
	v_cmp_eq_u64_e32 vcc, 0, v[10:11]
	v_cndmask_b32_e32 v6, v7, v8, vcc
	v_bfe_u32 v7, v2, 24, 1
	v_lshrrev_b64 v[2:3], v7, v[2:3]
; %bb.130:                              ;   in Loop: Header=BB21_29 Depth=1
	s_andn2_saveexec_b64 s[0:1], s[0:1]
; %bb.131:                              ;   in Loop: Header=BB21_29 Depth=1
	v_bfe_u32 v6, v2, 23, 1
; %bb.132:                              ;   in Loop: Header=BB21_29 Depth=1
	s_or_b64 exec, exec, s[0:1]
	v_lshrrev_b64 v[2:3], 20, v[2:3]
	v_cmp_gt_i32_e32 vcc, 16, v6
	v_cndmask_b32_e32 v3, 0, v3, vcc
	v_cndmask_b32_e32 v2, 7, v2, vcc
	v_cmp_ne_u32_e32 vcc, 0, v6
	v_cmp_ne_u64_e64 s[0:1], 0, v[2:3]
	s_or_b64 s[0:1], vcc, s[0:1]
                                        ; implicit-def: $vgpr3
	s_and_saveexec_b64 s[28:29], s[0:1]
	s_xor_b64 s[0:1], exec, s[28:29]
; %bb.133:                              ;   in Loop: Header=BB21_29 Depth=1
	v_min_i32_e32 v3, 15, v6
	v_lshl_or_b32 v3, v3, 3, v4
	v_and_or_b32 v3, v2, 7, v3
                                        ; implicit-def: $vgpr4
; %bb.134:                              ;   in Loop: Header=BB21_29 Depth=1
	s_andn2_saveexec_b64 s[0:1], s[0:1]
; %bb.135:                              ;   in Loop: Header=BB21_29 Depth=1
	v_mov_b32_e32 v3, v4
; %bb.136:                              ;   in Loop: Header=BB21_29 Depth=1
	s_or_b64 exec, exec, s[0:1]
.LBB21_137:                             ;   in Loop: Header=BB21_29 Depth=1
	s_or_b64 exec, exec, s[16:17]
.LBB21_138:                             ;   in Loop: Header=BB21_29 Depth=1
	s_andn2_saveexec_b64 s[0:1], s[14:15]
	s_or_b64 exec, exec, s[0:1]
                                        ; implicit-def: $vgpr2
.LBB21_139:                             ;   in Loop: Header=BB21_29 Depth=1
	s_andn2_saveexec_b64 s[0:1], s[12:13]
; %bb.140:                              ;   in Loop: Header=BB21_29 Depth=1
	v_or_b32_sdwa v2, v2, s27 dst_sel:DWORD dst_unused:UNUSED_PAD src0_sel:BYTE_3 src1_sel:DWORD
	v_cmp_eq_u64_e32 vcc, 0, v[10:11]
	v_cndmask_b32_e32 v3, v2, v3, vcc
; %bb.141:                              ;   in Loop: Header=BB21_29 Depth=1
	s_or_b64 exec, exec, s[0:1]
	v_add_u32_e32 v2, 6, v13
	global_store_byte v2, v3, s[2:3]
	v_and_b32_e32 v2, 0xffff0000, v5
	v_mul_f32_e32 v2, v1, v2
	v_bfe_u32 v3, v2, 16, 1
	v_add3_u32 v3, v2, v3, s24
	v_and_b32_e32 v3, 0xffff0000, v3
	v_cmp_o_f32_e32 vcc, v2, v2
	v_cndmask_b32_e32 v2, v17, v3, vcc
	v_and_b32_e32 v3, 0xffff0000, v9
	v_mul_f32_e32 v2, v2, v3
	v_bfe_u32 v3, v2, 16, 1
	v_add3_u32 v3, v2, v3, s24
	v_and_b32_e32 v3, 0xffff0000, v3
	v_cmp_o_f32_e32 vcc, v2, v2
	v_cndmask_b32_e32 v2, v17, v3, vcc
	v_mul_f32_e32 v2, v16, v2
	v_min_f32_e32 v2, 0x43e00000, v2
	v_max_f32_e32 v2, 0xc3e00000, v2
	v_and_b32_sdwa v4, v2, s25 dst_sel:DWORD dst_unused:UNUSED_PAD src0_sel:BYTE_3 src1_sel:DWORD
	v_and_b32_e32 v6, 0x7f800000, v2
	v_mov_b32_e32 v7, v11
	v_and_b32_e32 v10, 0x7fffff, v2
	v_or_b32_e32 v3, 0x7e, v4
	v_cmp_ne_u64_e32 vcc, s[6:7], v[6:7]
	s_and_saveexec_b64 s[0:1], vcc
	s_xor_b64 s[12:13], exec, s[0:1]
	s_cbranch_execz .LBB21_155
; %bb.142:                              ;   in Loop: Header=BB21_29 Depth=1
	v_and_b32_e32 v6, 0x7fffffff, v2
	v_mov_b32_e32 v7, v11
	v_cmp_gt_u64_e32 vcc, s[10:11], v[6:7]
	s_and_saveexec_b64 s[0:1], vcc
	s_xor_b64 s[14:15], exec, s[0:1]
	s_cbranch_execz .LBB21_154
; %bb.143:                              ;   in Loop: Header=BB21_29 Depth=1
	v_cmp_ne_u32_e32 vcc, 0, v2
	v_mov_b32_e32 v3, 0
	s_and_saveexec_b64 s[16:17], vcc
	s_cbranch_execz .LBB21_153
; %bb.144:                              ;   in Loop: Header=BB21_29 Depth=1
	v_bfe_u32 v2, v2, 23, 8
	v_sub_u32_e64 v3, s26, v2 clamp
	v_cmp_eq_u32_e32 vcc, 0, v2
	v_cndmask_b32_e32 v9, v3, v18, vcc
	v_add_u32_e32 v8, 0xffffff88, v2
	v_add_u32_e32 v2, 20, v9
	v_or_b32_e32 v5, 0x800000, v10
	v_lshlrev_b64 v[2:3], v2, -1
	v_cndmask_b32_e32 v10, v5, v10, vcc
	v_not_b32_e32 v3, v3
	v_not_b32_e32 v2, v2
	v_add_u32_e32 v5, 19, v9
	v_and_b32_e32 v3, 0, v3
	v_and_b32_e32 v2, v10, v2
	v_lshlrev_b64 v[6:7], v5, 1
	v_cmp_eq_u64_e64 s[0:1], v[2:3], v[6:7]
	v_lshrrev_b64 v[2:3], v9, v[10:11]
	v_and_b32_e32 v10, 0x100000, v2
	v_cndmask_b32_e32 v5, v8, v19, vcc
	v_cmp_eq_u64_e32 vcc, 0, v[10:11]
	v_lshrrev_b32_e32 v6, 23, v2
	s_and_b64 vcc, vcc, s[0:1]
	v_add3_u32 v6, v5, v9, v6
	v_subbrev_co_u32_e32 v5, vcc, 0, v2, vcc
	v_and_b32_e32 v5, 0xfffff, v5
	v_add_co_u32_e32 v2, vcc, v5, v2
	v_add_u32_e32 v7, -1, v6
	v_addc_co_u32_e32 v3, vcc, 0, v3, vcc
	v_cmp_ne_u32_e32 vcc, 0, v7
                                        ; implicit-def: $vgpr5
	s_and_saveexec_b64 s[0:1], vcc
	s_xor_b64 s[0:1], exec, s[0:1]
; %bb.145:                              ;   in Loop: Header=BB21_29 Depth=1
	v_and_b32_e32 v10, 0x1000000, v2
	v_cmp_eq_u64_e32 vcc, 0, v[10:11]
	v_cndmask_b32_e32 v5, v6, v7, vcc
	v_bfe_u32 v6, v2, 24, 1
	v_lshrrev_b64 v[2:3], v6, v[2:3]
; %bb.146:                              ;   in Loop: Header=BB21_29 Depth=1
	s_andn2_saveexec_b64 s[0:1], s[0:1]
; %bb.147:                              ;   in Loop: Header=BB21_29 Depth=1
	v_bfe_u32 v5, v2, 23, 1
; %bb.148:                              ;   in Loop: Header=BB21_29 Depth=1
	s_or_b64 exec, exec, s[0:1]
	v_lshrrev_b64 v[2:3], 20, v[2:3]
	v_cmp_gt_i32_e32 vcc, 16, v5
	v_cndmask_b32_e32 v3, 0, v3, vcc
	v_cndmask_b32_e32 v2, 7, v2, vcc
	v_cmp_ne_u32_e32 vcc, 0, v5
	v_cmp_ne_u64_e64 s[0:1], 0, v[2:3]
	s_or_b64 s[0:1], vcc, s[0:1]
                                        ; implicit-def: $vgpr3
	s_and_saveexec_b64 s[28:29], s[0:1]
	s_xor_b64 s[0:1], exec, s[28:29]
; %bb.149:                              ;   in Loop: Header=BB21_29 Depth=1
	v_min_i32_e32 v3, 15, v5
	v_lshl_or_b32 v3, v3, 3, v4
	v_and_or_b32 v3, v2, 7, v3
                                        ; implicit-def: $vgpr4
; %bb.150:                              ;   in Loop: Header=BB21_29 Depth=1
	s_andn2_saveexec_b64 s[0:1], s[0:1]
; %bb.151:                              ;   in Loop: Header=BB21_29 Depth=1
	v_mov_b32_e32 v3, v4
; %bb.152:                              ;   in Loop: Header=BB21_29 Depth=1
	s_or_b64 exec, exec, s[0:1]
.LBB21_153:                             ;   in Loop: Header=BB21_29 Depth=1
	s_or_b64 exec, exec, s[16:17]
.LBB21_154:                             ;   in Loop: Header=BB21_29 Depth=1
	s_andn2_saveexec_b64 s[0:1], s[14:15]
	s_or_b64 exec, exec, s[0:1]
                                        ; implicit-def: $vgpr2
.LBB21_155:                             ;   in Loop: Header=BB21_29 Depth=1
	s_andn2_saveexec_b64 s[0:1], s[12:13]
	s_cbranch_execz .LBB21_28
; %bb.156:                              ;   in Loop: Header=BB21_29 Depth=1
	v_or_b32_sdwa v2, v2, s27 dst_sel:DWORD dst_unused:UNUSED_PAD src0_sel:BYTE_3 src1_sel:DWORD
	v_cmp_eq_u64_e32 vcc, 0, v[10:11]
	v_cndmask_b32_e32 v3, v2, v3, vcc
	s_branch .LBB21_28
.LBB21_157:
	s_endpgm
	.section	.rodata,"a",@progbits
	.p2align	6, 0x0
	.amdhsa_kernel _ZN4vllm32rms_norm_static_fp8_quant_kernelIN3c108BFloat16ENS1_13Float8_e4m3fnELi8EEEvPT0_PKT_iS8_PKffii
		.amdhsa_group_segment_fixed_size 68
		.amdhsa_private_segment_fixed_size 0
		.amdhsa_kernarg_size 312
		.amdhsa_user_sgpr_count 6
		.amdhsa_user_sgpr_private_segment_buffer 1
		.amdhsa_user_sgpr_dispatch_ptr 0
		.amdhsa_user_sgpr_queue_ptr 0
		.amdhsa_user_sgpr_kernarg_segment_ptr 1
		.amdhsa_user_sgpr_dispatch_id 0
		.amdhsa_user_sgpr_flat_scratch_init 0
		.amdhsa_user_sgpr_kernarg_preload_length 0
		.amdhsa_user_sgpr_kernarg_preload_offset 0
		.amdhsa_user_sgpr_private_segment_size 0
		.amdhsa_uses_dynamic_stack 0
		.amdhsa_system_sgpr_private_segment_wavefront_offset 0
		.amdhsa_system_sgpr_workgroup_id_x 1
		.amdhsa_system_sgpr_workgroup_id_y 0
		.amdhsa_system_sgpr_workgroup_id_z 0
		.amdhsa_system_sgpr_workgroup_info 0
		.amdhsa_system_vgpr_workitem_id 0
		.amdhsa_next_free_vgpr 26
		.amdhsa_next_free_sgpr 30
		.amdhsa_accum_offset 28
		.amdhsa_reserve_vcc 1
		.amdhsa_reserve_flat_scratch 0
		.amdhsa_float_round_mode_32 0
		.amdhsa_float_round_mode_16_64 0
		.amdhsa_float_denorm_mode_32 3
		.amdhsa_float_denorm_mode_16_64 3
		.amdhsa_dx10_clamp 1
		.amdhsa_ieee_mode 1
		.amdhsa_fp16_overflow 0
		.amdhsa_tg_split 0
		.amdhsa_exception_fp_ieee_invalid_op 0
		.amdhsa_exception_fp_denorm_src 0
		.amdhsa_exception_fp_ieee_div_zero 0
		.amdhsa_exception_fp_ieee_overflow 0
		.amdhsa_exception_fp_ieee_underflow 0
		.amdhsa_exception_fp_ieee_inexact 0
		.amdhsa_exception_int_div_zero 0
	.end_amdhsa_kernel
	.section	.text._ZN4vllm32rms_norm_static_fp8_quant_kernelIN3c108BFloat16ENS1_13Float8_e4m3fnELi8EEEvPT0_PKT_iS8_PKffii,"axG",@progbits,_ZN4vllm32rms_norm_static_fp8_quant_kernelIN3c108BFloat16ENS1_13Float8_e4m3fnELi8EEEvPT0_PKT_iS8_PKffii,comdat
.Lfunc_end21:
	.size	_ZN4vllm32rms_norm_static_fp8_quant_kernelIN3c108BFloat16ENS1_13Float8_e4m3fnELi8EEEvPT0_PKT_iS8_PKffii, .Lfunc_end21-_ZN4vllm32rms_norm_static_fp8_quant_kernelIN3c108BFloat16ENS1_13Float8_e4m3fnELi8EEEvPT0_PKT_iS8_PKffii
                                        ; -- End function
	.section	.AMDGPU.csdata,"",@progbits
; Kernel info:
; codeLenInByte = 6348
; NumSgprs: 34
; NumVgprs: 26
; NumAgprs: 0
; TotalNumVgprs: 26
; ScratchSize: 0
; MemoryBound: 0
; FloatMode: 240
; IeeeMode: 1
; LDSByteSize: 68 bytes/workgroup (compile time only)
; SGPRBlocks: 4
; VGPRBlocks: 3
; NumSGPRsForWavesPerEU: 34
; NumVGPRsForWavesPerEU: 26
; AccumOffset: 28
; Occupancy: 8
; WaveLimiterHint : 0
; COMPUTE_PGM_RSRC2:SCRATCH_EN: 0
; COMPUTE_PGM_RSRC2:USER_SGPR: 6
; COMPUTE_PGM_RSRC2:TRAP_HANDLER: 0
; COMPUTE_PGM_RSRC2:TGID_X_EN: 1
; COMPUTE_PGM_RSRC2:TGID_Y_EN: 0
; COMPUTE_PGM_RSRC2:TGID_Z_EN: 0
; COMPUTE_PGM_RSRC2:TIDIG_COMP_CNT: 0
; COMPUTE_PGM_RSRC3_GFX90A:ACCUM_OFFSET: 6
; COMPUTE_PGM_RSRC3_GFX90A:TG_SPLIT: 0
	.section	.text._ZN4vllm32rms_norm_static_fp8_quant_kernelIN3c108BFloat16ENS1_13Float8_e4m3fnELi4EEEvPT0_PKT_iS8_PKffii,"axG",@progbits,_ZN4vllm32rms_norm_static_fp8_quant_kernelIN3c108BFloat16ENS1_13Float8_e4m3fnELi4EEEvPT0_PKT_iS8_PKffii,comdat
	.protected	_ZN4vllm32rms_norm_static_fp8_quant_kernelIN3c108BFloat16ENS1_13Float8_e4m3fnELi4EEEvPT0_PKT_iS8_PKffii ; -- Begin function _ZN4vllm32rms_norm_static_fp8_quant_kernelIN3c108BFloat16ENS1_13Float8_e4m3fnELi4EEEvPT0_PKT_iS8_PKffii
	.globl	_ZN4vllm32rms_norm_static_fp8_quant_kernelIN3c108BFloat16ENS1_13Float8_e4m3fnELi4EEEvPT0_PKT_iS8_PKffii
	.p2align	8
	.type	_ZN4vllm32rms_norm_static_fp8_quant_kernelIN3c108BFloat16ENS1_13Float8_e4m3fnELi4EEEvPT0_PKT_iS8_PKffii,@function
_ZN4vllm32rms_norm_static_fp8_quant_kernelIN3c108BFloat16ENS1_13Float8_e4m3fnELi4EEEvPT0_PKT_iS8_PKffii: ; @_ZN4vllm32rms_norm_static_fp8_quant_kernelIN3c108BFloat16ENS1_13Float8_e4m3fnELi4EEEvPT0_PKT_iS8_PKffii
; %bb.0:
	s_load_dword s2, s[4:5], 0x10
	s_load_dwordx2 s[0:1], s[4:5], 0x8
	s_load_dword s14, s[4:5], 0x30
	s_load_dword s10, s[4:5], 0x44
	s_mov_b32 s9, 0
	s_waitcnt lgkmcnt(0)
	s_mul_i32 s8, s6, s2
	s_lshl_b64 s[2:3], s[8:9], 1
	s_add_u32 s18, s0, s2
	s_addc_u32 s7, s1, s3
	s_and_b32 s19, s10, 0xffff
	s_and_b32 s8, s18, 7
	s_cmp_lg_u64 s[8:9], 0
	s_cselect_b64 s[8:9], -1, 0
	s_and_b32 s10, s14, 3
	s_cmp_lg_u32 s10, 0
	s_cselect_b64 s[10:11], -1, 0
	s_or_b64 s[8:9], s[8:9], s[10:11]
	s_and_b64 vcc, exec, s[8:9]
	s_cbranch_vccz .LBB22_14
; %bb.1:
	s_sub_i32 s8, 0, s18
	s_bfe_u32 s8, s8, 0x20001
	s_min_i32 s8, s8, s14
	v_cmp_gt_i32_e32 vcc, s8, v0
	v_mov_b32_e32 v1, 0
	s_and_saveexec_b64 s[10:11], vcc
	s_cbranch_execz .LBB22_5
; %bb.2:
	s_add_u32 s9, s0, s2
	v_lshlrev_b32_e32 v1, 1, v0
	s_addc_u32 s12, s1, s3
	s_mov_b32 s15, 0
	v_mov_b32_e32 v3, s12
	v_add_co_u32_e32 v2, vcc, s9, v1
	v_addc_co_u32_e32 v3, vcc, 0, v3, vcc
	s_lshl_b32 s9, s19, 1
	s_mov_b64 s[12:13], 0
	v_mov_b32_e32 v1, 0
	v_mov_b32_e32 v4, s15
	;; [unrolled: 1-line block ×3, first 2 shown]
.LBB22_3:                               ; =>This Inner Loop Header: Depth=1
	global_load_ushort v6, v[2:3], off
	v_add_co_u32_e32 v2, vcc, s9, v2
	v_add_u32_e32 v5, s19, v5
	v_addc_co_u32_e32 v3, vcc, v3, v4, vcc
	v_cmp_le_i32_e32 vcc, s8, v5
	s_or_b64 s[12:13], vcc, s[12:13]
	s_waitcnt vmcnt(0)
	v_lshlrev_b32_e32 v6, 16, v6
	v_fmac_f32_e32 v1, v6, v6
	s_andn2_b64 exec, exec, s[12:13]
	s_cbranch_execnz .LBB22_3
; %bb.4:
	s_or_b64 exec, exec, s[12:13]
.LBB22_5:
	s_or_b64 exec, exec, s[10:11]
	s_sub_i32 s15, s14, s8
	s_ashr_i32 s10, s15, 31
	s_lshr_b32 s10, s10, 30
	s_add_i32 s10, s15, s10
	s_ashr_i32 s16, s10, 2
	s_ashr_i32 s9, s8, 31
	v_cmp_gt_i32_e32 vcc, s16, v0
	s_and_saveexec_b64 s[10:11], vcc
	s_cbranch_execz .LBB22_9
; %bb.6:
	s_lshl_b64 s[12:13], s[8:9], 1
	s_add_u32 s17, s0, s2
	s_addc_u32 s21, s1, s3
	s_add_u32 s12, s17, s12
	v_lshlrev_b32_e32 v2, 3, v0
	s_addc_u32 s13, s21, s13
	v_mov_b32_e32 v3, s13
	v_add_co_u32_e32 v2, vcc, s12, v2
	v_addc_co_u32_e32 v3, vcc, 0, v3, vcc
	s_mov_b32 s20, 0
	v_add_co_u32_e32 v2, vcc, 4, v2
	v_addc_co_u32_e32 v3, vcc, 0, v3, vcc
	s_lshl_b32 s17, s19, 3
	s_mov_b64 s[12:13], 0
	v_mov_b32_e32 v4, s20
	v_mov_b32_e32 v5, v0
.LBB22_7:                               ; =>This Inner Loop Header: Depth=1
	global_load_dwordx2 v[6:7], v[2:3], off offset:-4
	v_add_co_u32_e32 v2, vcc, s17, v2
	v_add_u32_e32 v5, s19, v5
	v_addc_co_u32_e32 v3, vcc, v3, v4, vcc
	v_cmp_le_i32_e32 vcc, s16, v5
	s_or_b64 s[12:13], vcc, s[12:13]
	s_waitcnt vmcnt(0)
	v_and_b32_e32 v9, 0xffff0000, v6
	v_lshlrev_b32_e32 v8, 16, v6
	v_and_b32_e32 v11, 0xffff0000, v7
	v_lshlrev_b32_e32 v10, 16, v7
	v_pk_mul_f32 v[6:7], v[8:9], v[8:9]
	v_add_f32_e32 v1, v1, v6
	v_pk_mul_f32 v[8:9], v[10:11], v[10:11]
	v_add_f32_e32 v1, v1, v7
	v_add_f32_e32 v1, v1, v8
	;; [unrolled: 1-line block ×3, first 2 shown]
	s_andn2_b64 exec, exec, s[12:13]
	s_cbranch_execnz .LBB22_7
; %bb.8:
	s_or_b64 exec, exec, s[12:13]
.LBB22_9:
	s_or_b64 exec, exec, s[10:11]
	v_lshl_add_u32 v2, s16, 2, v0
	v_cmp_gt_i32_e32 vcc, s15, v2
	s_and_saveexec_b64 s[10:11], vcc
	s_cbranch_execz .LBB22_13
; %bb.10:
	s_lshl_b64 s[8:9], s[8:9], 1
	s_add_u32 s12, s0, s2
	s_addc_u32 s13, s1, s3
	v_ashrrev_i32_e32 v3, 31, v2
	s_add_u32 s8, s12, s8
	v_lshlrev_b64 v[4:5], 1, v[2:3]
	s_addc_u32 s9, s13, s9
	v_mov_b32_e32 v3, s9
	v_add_co_u32_e32 v4, vcc, s8, v4
	s_mov_b32 s13, 0
	v_addc_co_u32_e32 v5, vcc, v3, v5, vcc
	s_lshl_b32 s12, s19, 1
	s_mov_b64 s[8:9], 0
	v_mov_b32_e32 v3, s13
.LBB22_11:                              ; =>This Inner Loop Header: Depth=1
	global_load_ushort v6, v[4:5], off
	v_add_co_u32_e32 v4, vcc, s12, v4
	v_add_u32_e32 v2, s19, v2
	v_addc_co_u32_e32 v5, vcc, v5, v3, vcc
	v_cmp_le_i32_e32 vcc, s15, v2
	s_or_b64 s[8:9], vcc, s[8:9]
	s_waitcnt vmcnt(0)
	v_lshlrev_b32_e32 v6, 16, v6
	v_fmac_f32_e32 v1, v6, v6
	s_andn2_b64 exec, exec, s[8:9]
	s_cbranch_execnz .LBB22_11
; %bb.12:
	s_or_b64 exec, exec, s[8:9]
.LBB22_13:
	s_or_b64 exec, exec, s[10:11]
	s_branch .LBB22_20
.LBB22_14:
                                        ; implicit-def: $vgpr1
	s_cbranch_execz .LBB22_20
; %bb.15:
	s_ashr_i32 s10, s14, 2
	v_cmp_gt_i32_e32 vcc, s10, v0
	v_mov_b32_e32 v1, 0
	s_and_saveexec_b64 s[8:9], vcc
	s_cbranch_execz .LBB22_19
; %bb.16:
	s_add_u32 s0, s0, s2
	v_lshlrev_b32_e32 v1, 3, v0
	s_addc_u32 s1, s1, s3
	s_mov_b32 s11, 0
	v_mov_b32_e32 v3, s1
	v_add_co_u32_e32 v2, vcc, s0, v1
	v_addc_co_u32_e32 v3, vcc, 0, v3, vcc
	s_lshl_b32 s2, s19, 3
	s_mov_b64 s[0:1], 0
	v_mov_b32_e32 v1, 0
	v_mov_b32_e32 v4, s11
	;; [unrolled: 1-line block ×3, first 2 shown]
.LBB22_17:                              ; =>This Inner Loop Header: Depth=1
	global_load_dwordx2 v[6:7], v[2:3], off
	v_add_co_u32_e32 v2, vcc, s2, v2
	v_add_u32_e32 v5, s19, v5
	v_addc_co_u32_e32 v3, vcc, v3, v4, vcc
	v_cmp_le_i32_e32 vcc, s10, v5
	s_or_b64 s[0:1], vcc, s[0:1]
	s_waitcnt vmcnt(0)
	v_lshlrev_b32_e32 v9, 16, v6
	v_and_b32_e32 v8, 0xffff0000, v6
	v_alignbit_b32 v6, v7, v6, 16
	v_fmac_f32_e32 v1, v9, v9
	v_and_b32_e32 v6, 0xffff0000, v6
	v_fmac_f32_e32 v1, v8, v8
	v_and_b32_e32 v7, 0xffff0000, v7
	v_fmac_f32_e32 v1, v6, v6
	v_fmac_f32_e32 v1, v7, v7
	s_andn2_b64 exec, exec, s[0:1]
	s_cbranch_execnz .LBB22_17
; %bb.18:
	s_or_b64 exec, exec, s[0:1]
.LBB22_19:
	s_or_b64 exec, exec, s[8:9]
.LBB22_20:
	v_mbcnt_lo_u32_b32 v2, -1, 0
	v_mbcnt_hi_u32_b32 v2, -1, v2
	v_and_b32_e32 v3, 63, v2
	v_cmp_ne_u32_e32 vcc, 63, v3
	v_addc_co_u32_e32 v4, vcc, 0, v2, vcc
	v_lshlrev_b32_e32 v4, 2, v4
	ds_bpermute_b32 v4, v4, v1
	v_and_b32_e32 v5, 0x3c0, v0
	v_sub_u32_e64 v5, s19, v5 clamp
	v_add_u32_e32 v6, 1, v2
	v_cmp_lt_u32_e32 vcc, v6, v5
	s_waitcnt lgkmcnt(0)
	v_add_f32_e32 v4, v1, v4
	v_cndmask_b32_e32 v1, v1, v4, vcc
	v_cmp_gt_u32_e32 vcc, 62, v3
	v_cndmask_b32_e64 v4, 0, 1, vcc
	v_lshlrev_b32_e32 v4, 1, v4
	v_add_lshl_u32 v4, v4, v2, 2
	ds_bpermute_b32 v4, v4, v1
	v_add_u32_e32 v6, 2, v2
	v_cmp_lt_u32_e32 vcc, v6, v5
	v_add_u32_e32 v6, 4, v2
	s_waitcnt lgkmcnt(0)
	v_add_f32_e32 v4, v1, v4
	v_cndmask_b32_e32 v1, v1, v4, vcc
	v_cmp_gt_u32_e32 vcc, 60, v3
	v_cndmask_b32_e64 v4, 0, 1, vcc
	v_lshlrev_b32_e32 v4, 2, v4
	v_add_lshl_u32 v4, v4, v2, 2
	ds_bpermute_b32 v4, v4, v1
	v_cmp_lt_u32_e32 vcc, v6, v5
	v_add_u32_e32 v6, 8, v2
	s_waitcnt lgkmcnt(0)
	v_add_f32_e32 v4, v1, v4
	v_cndmask_b32_e32 v1, v1, v4, vcc
	v_cmp_gt_u32_e32 vcc, 56, v3
	v_cndmask_b32_e64 v4, 0, 1, vcc
	v_lshlrev_b32_e32 v4, 3, v4
	v_add_lshl_u32 v4, v4, v2, 2
	ds_bpermute_b32 v4, v4, v1
	;; [unrolled: 10-line block ×3, first 2 shown]
	v_cmp_lt_u32_e32 vcc, v6, v5
	s_waitcnt lgkmcnt(0)
	v_add_f32_e32 v4, v1, v4
	v_cndmask_b32_e32 v1, v1, v4, vcc
	v_cmp_gt_u32_e32 vcc, 32, v3
	v_cndmask_b32_e64 v3, 0, 1, vcc
	v_lshlrev_b32_e32 v3, 5, v3
	v_add_lshl_u32 v3, v3, v2, 2
	ds_bpermute_b32 v3, v3, v1
	v_add_u32_e32 v4, 32, v2
	v_cmp_lt_u32_e32 vcc, v4, v5
	s_waitcnt lgkmcnt(0)
	v_add_f32_e32 v3, v1, v3
	v_cndmask_b32_e32 v1, v1, v3, vcc
	v_cmp_eq_u32_e32 vcc, 0, v2
	s_and_saveexec_b64 s[0:1], vcc
	s_cbranch_execz .LBB22_22
; %bb.21:
	v_lshrrev_b32_e32 v3, 4, v0
	v_and_b32_e32 v3, 60, v3
	ds_write_b32 v3, v1
.LBB22_22:
	s_or_b64 exec, exec, s[0:1]
	v_cmp_gt_u32_e32 vcc, 16, v0
	s_waitcnt lgkmcnt(0)
	s_barrier
	s_and_saveexec_b64 s[2:3], vcc
	s_cbranch_execz .LBB22_24
; %bb.23:
	v_lshlrev_b32_e32 v1, 2, v2
	ds_read_b32 v1, v1
	v_and_b32_e32 v3, 15, v2
	v_cmp_ne_u32_e32 vcc, 15, v3
	v_addc_co_u32_e32 v4, vcc, 0, v2, vcc
	v_lshlrev_b32_e32 v4, 2, v4
	s_waitcnt lgkmcnt(0)
	ds_bpermute_b32 v4, v4, v1
	s_add_i32 s0, s19, 63
	s_lshr_b32 s8, s0, 6
	v_add_u32_e32 v5, 1, v3
	v_cmp_gt_u32_e64 s[0:1], 14, v3
	v_cmp_gt_u32_e32 vcc, s8, v5
	v_cndmask_b32_e64 v5, 0, 1, s[0:1]
	s_waitcnt lgkmcnt(0)
	v_add_f32_e32 v4, v1, v4
	v_lshlrev_b32_e32 v5, 1, v5
	v_cndmask_b32_e32 v4, v1, v4, vcc
	v_add_lshl_u32 v5, v5, v2, 2
	ds_bpermute_b32 v5, v5, v4
	v_add_u32_e32 v6, 2, v3
	v_cmp_gt_u32_e64 s[0:1], s8, v6
	v_add_u32_e32 v6, 4, v3
	s_waitcnt lgkmcnt(0)
	v_add_f32_e32 v5, v4, v5
	v_cndmask_b32_e64 v4, v4, v5, s[0:1]
	v_cmp_gt_u32_e64 s[0:1], 12, v3
	v_cndmask_b32_e64 v5, 0, 1, s[0:1]
	v_lshlrev_b32_e32 v5, 2, v5
	v_add_lshl_u32 v5, v5, v2, 2
	ds_bpermute_b32 v5, v5, v4
	v_cmp_gt_u32_e64 s[0:1], s8, v6
	s_waitcnt lgkmcnt(0)
	v_add_f32_e32 v5, v4, v5
	v_cndmask_b32_e64 v4, v4, v5, s[0:1]
	v_cmp_gt_u32_e64 s[0:1], 8, v3
	v_cndmask_b32_e64 v5, 0, 1, s[0:1]
	v_lshlrev_b32_e32 v5, 3, v5
	v_add_lshl_u32 v2, v5, v2, 2
	ds_bpermute_b32 v2, v2, v4
	v_add_u32_e32 v3, 8, v3
	v_cmp_gt_u32_e64 s[0:1], s8, v3
	s_waitcnt lgkmcnt(0)
	v_add_f32_e32 v2, v4, v2
	v_cndmask_b32_e64 v2, v4, v2, s[0:1]
	v_cndmask_b32_e32 v1, v1, v2, vcc
.LBB22_24:
	s_or_b64 exec, exec, s[2:3]
	v_cmp_eq_u32_e32 vcc, 0, v0
	s_and_saveexec_b64 s[0:1], vcc
	s_cbranch_execz .LBB22_26
; %bb.25:
	v_cvt_f32_i32_e32 v2, s14
	s_load_dword s8, s[4:5], 0x28
	v_div_scale_f32 v3, s[2:3], v2, v2, v1
	v_rcp_f32_e32 v4, v3
	v_div_scale_f32 v5, vcc, v1, v2, v1
	s_mov_b32 s2, 0x800000
	v_fma_f32 v6, -v3, v4, 1.0
	v_fmac_f32_e32 v4, v6, v4
	v_mul_f32_e32 v6, v5, v4
	v_fma_f32 v7, -v3, v6, v5
	v_fmac_f32_e32 v6, v7, v4
	v_fma_f32 v3, -v3, v6, v5
	v_div_fmas_f32 v3, v3, v4, v6
	v_div_fixup_f32 v1, v3, v2, v1
	s_waitcnt lgkmcnt(0)
	v_add_f32_e32 v1, s8, v1
	v_mul_f32_e32 v2, 0x4b800000, v1
	v_cmp_gt_f32_e32 vcc, s2, v1
	v_cndmask_b32_e32 v1, v1, v2, vcc
	v_rsq_f32_e32 v1, v1
	v_mul_f32_e32 v2, 0x45800000, v1
	v_cndmask_b32_e32 v1, v1, v2, vcc
	v_mov_b32_e32 v2, 0
	ds_write_b32 v2, v1 offset:64
.LBB22_26:
	s_or_b64 exec, exec, s[0:1]
	s_ashr_i32 s0, s14, 31
	s_lshr_b32 s0, s0, 30
	s_add_i32 s0, s14, s0
	s_ashr_i32 s20, s0, 2
	v_cmp_gt_i32_e32 vcc, s20, v0
	s_waitcnt lgkmcnt(0)
	s_barrier
	s_and_saveexec_b64 s[0:1], vcc
	s_cbranch_execz .LBB22_93
; %bb.27:
	s_load_dwordx4 s[8:11], s[4:5], 0x18
	s_load_dwordx2 s[2:3], s[4:5], 0x0
	v_mov_b32_e32 v3, 0
	ds_read_b32 v1, v3 offset:64
	s_mul_i32 s6, s6, s14
	s_waitcnt lgkmcnt(0)
	s_load_dword s4, s[10:11], 0x0
	v_lshlrev_b32_e32 v2, 3, v0
	s_lshl_b32 s21, s19, 2
	v_lshl_add_u32 v12, v0, 2, s6
	s_mov_b32 s22, 0
	s_waitcnt lgkmcnt(0)
	v_div_scale_f32 v4, s[0:1], s4, s4, 1.0
	v_rcp_f32_e32 v5, v4
	v_div_scale_f32 v6, vcc, 1.0, s4, 1.0
	s_lshl_b32 s23, s19, 3
	v_fma_f32 v7, -v4, v5, 1.0
	v_fmac_f32_e32 v5, v7, v5
	v_mul_f32_e32 v7, v6, v5
	v_fma_f32 v8, -v4, v7, v6
	v_fmac_f32_e32 v7, v8, v5
	v_fma_f32 v4, -v4, v7, v6
	v_div_fmas_f32 v4, v4, v5, v7
	v_div_fixup_f32 v13, v4, s4, 1.0
	s_mov_b64 s[4:5], 0
	v_mov_b32_e32 v14, s7
	v_mov_b32_e32 v15, s9
	s_movk_i32 s9, 0x7fff
	v_mov_b32_e32 v16, 0x7fc00000
	s_movk_i32 s24, 0x80
	s_mov_b64 s[6:7], 0x7f800000
	s_mov_b64 s[10:11], 0x43e00001
	s_movk_i32 s25, 0x79
	s_movk_i32 s26, 0x7f
	v_mov_b32_e32 v17, 0x78
	v_mov_b32_e32 v18, 0xffffff89
	v_pk_mov_b32 v[4:5], v[2:3], v[2:3] op_sel:[0,1]
	s_branch .LBB22_29
.LBB22_28:                              ;   in Loop: Header=BB22_29 Depth=1
	s_or_b64 exec, exec, s[0:1]
	v_add_u32_e32 v0, s19, v0
	v_add_u32_e32 v2, 3, v12
	v_cmp_le_i32_e32 vcc, s20, v0
	global_store_byte v2, v7, s[2:3]
	v_mov_b32_e32 v2, s22
	s_or_b64 s[4:5], vcc, s[4:5]
	v_add_co_u32_e32 v4, vcc, s23, v4
	v_add_u32_e32 v12, s21, v12
	v_addc_co_u32_e32 v5, vcc, v5, v2, vcc
	s_andn2_b64 exec, exec, s[4:5]
	s_cbranch_execz .LBB22_93
.LBB22_29:                              ; =>This Inner Loop Header: Depth=1
	v_add_co_u32_e32 v6, vcc, s18, v4
	v_addc_co_u32_e32 v7, vcc, v14, v5, vcc
	global_load_dwordx2 v[8:9], v[6:7], off
	v_add_co_u32_e32 v6, vcc, s8, v4
	v_addc_co_u32_e32 v7, vcc, v15, v5, vcc
	global_load_dwordx2 v[6:7], v[6:7], off
	v_mov_b32_e32 v21, v3
	s_waitcnt vmcnt(1)
	v_lshlrev_b32_e32 v2, 16, v8
	v_mul_f32_e32 v2, v1, v2
	v_bfe_u32 v11, v2, 16, 1
	v_add3_u32 v11, v2, v11, s9
	v_and_b32_e32 v11, 0xffff0000, v11
	v_cmp_o_f32_e32 vcc, v2, v2
	s_waitcnt vmcnt(0)
	v_lshlrev_b32_e32 v10, 16, v6
	v_cndmask_b32_e32 v2, v16, v11, vcc
	v_mul_f32_e32 v2, v2, v10
	v_bfe_u32 v10, v2, 16, 1
	v_add3_u32 v10, v2, v10, s9
	v_and_b32_e32 v10, 0xffff0000, v10
	v_cmp_o_f32_e32 vcc, v2, v2
	v_cndmask_b32_e32 v2, v16, v10, vcc
	v_mul_f32_e32 v2, v13, v2
	v_min_f32_e32 v2, 0x43e00000, v2
	v_max_f32_e32 v10, 0xc3e00000, v2
	v_and_b32_sdwa v19, v10, s24 dst_sel:DWORD dst_unused:UNUSED_PAD src0_sel:BYTE_3 src1_sel:DWORD
	v_and_b32_e32 v20, 0x7f800000, v10
	v_and_b32_e32 v2, 0x7fffff, v10
	v_or_b32_e32 v11, 0x7e, v19
	v_cmp_ne_u64_e32 vcc, s[6:7], v[20:21]
	s_and_saveexec_b64 s[0:1], vcc
	s_xor_b64 s[12:13], exec, s[0:1]
	s_cbranch_execz .LBB22_43
; %bb.30:                               ;   in Loop: Header=BB22_29 Depth=1
	v_and_b32_e32 v20, 0x7fffffff, v10
	v_mov_b32_e32 v21, v3
	v_cmp_gt_u64_e32 vcc, s[10:11], v[20:21]
	s_and_saveexec_b64 s[0:1], vcc
	s_xor_b64 s[14:15], exec, s[0:1]
	s_cbranch_execz .LBB22_42
; %bb.31:                               ;   in Loop: Header=BB22_29 Depth=1
	v_cmp_ne_u32_e32 vcc, 0, v10
	v_mov_b32_e32 v11, 0
	s_and_saveexec_b64 s[16:17], vcc
	s_cbranch_execz .LBB22_41
; %bb.32:                               ;   in Loop: Header=BB22_29 Depth=1
	v_bfe_u32 v10, v10, 23, 8
	v_sub_u32_e64 v11, s25, v10 clamp
	v_cmp_eq_u32_e32 vcc, 0, v10
	v_cndmask_b32_e32 v23, v11, v17, vcc
	v_add_u32_e32 v22, 0xffffff88, v10
	v_add_u32_e32 v10, 20, v23
	v_or_b32_e32 v20, 0x800000, v2
	v_lshlrev_b64 v[10:11], v10, -1
	v_cndmask_b32_e32 v2, v20, v2, vcc
	v_not_b32_e32 v11, v11
	v_not_b32_e32 v10, v10
	v_add_u32_e32 v20, 19, v23
	v_and_b32_e32 v11, 0, v11
	v_and_b32_e32 v10, v2, v10
	v_lshlrev_b64 v[20:21], v20, 1
	v_cmp_eq_u64_e64 s[0:1], v[10:11], v[20:21]
	s_waitcnt vmcnt(0) expcnt(0) lgkmcnt(0)
	v_swap_b32 v0, v23
	v_lshrrev_b64 v[10:11], v0, v[2:3]
	v_swap_b32 v23, v0
	v_cndmask_b32_e32 v2, v22, v18, vcc
	v_lshrrev_b32_e32 v20, 23, v10
	v_add3_u32 v20, v2, v23, v20
	v_and_b32_e32 v2, 0x100000, v10
	v_cmp_eq_u64_e32 vcc, 0, v[2:3]
	s_and_b64 vcc, vcc, s[0:1]
	v_subbrev_co_u32_e32 v2, vcc, 0, v10, vcc
	v_and_b32_e32 v2, 0xfffff, v2
	v_add_co_u32_e32 v10, vcc, v2, v10
	v_add_u32_e32 v21, -1, v20
	v_addc_co_u32_e32 v11, vcc, 0, v11, vcc
	v_cmp_ne_u32_e32 vcc, 0, v21
                                        ; implicit-def: $vgpr2
	s_and_saveexec_b64 s[0:1], vcc
	s_xor_b64 s[0:1], exec, s[0:1]
; %bb.33:                               ;   in Loop: Header=BB22_29 Depth=1
	v_and_b32_e32 v2, 0x1000000, v10
	v_cmp_eq_u64_e32 vcc, 0, v[2:3]
	v_cndmask_b32_e32 v2, v20, v21, vcc
	v_bfe_u32 v20, v10, 24, 1
	v_lshrrev_b64 v[10:11], v20, v[10:11]
; %bb.34:                               ;   in Loop: Header=BB22_29 Depth=1
	s_andn2_saveexec_b64 s[0:1], s[0:1]
; %bb.35:                               ;   in Loop: Header=BB22_29 Depth=1
	v_bfe_u32 v2, v10, 23, 1
; %bb.36:                               ;   in Loop: Header=BB22_29 Depth=1
	s_or_b64 exec, exec, s[0:1]
	v_lshrrev_b64 v[10:11], 20, v[10:11]
	v_cmp_gt_i32_e32 vcc, 16, v2
	v_cndmask_b32_e32 v11, 0, v11, vcc
	v_cndmask_b32_e32 v10, 7, v10, vcc
	v_cmp_ne_u32_e32 vcc, 0, v2
	v_cmp_ne_u64_e64 s[0:1], 0, v[10:11]
	s_or_b64 s[0:1], vcc, s[0:1]
                                        ; implicit-def: $vgpr11
	s_and_saveexec_b64 s[28:29], s[0:1]
	s_xor_b64 s[0:1], exec, s[28:29]
; %bb.37:                               ;   in Loop: Header=BB22_29 Depth=1
	v_min_i32_e32 v2, 15, v2
	v_lshl_or_b32 v2, v2, 3, v19
	v_and_or_b32 v11, v10, 7, v2
                                        ; implicit-def: $vgpr19
; %bb.38:                               ;   in Loop: Header=BB22_29 Depth=1
	s_andn2_saveexec_b64 s[0:1], s[0:1]
; %bb.39:                               ;   in Loop: Header=BB22_29 Depth=1
	v_mov_b32_e32 v11, v19
; %bb.40:                               ;   in Loop: Header=BB22_29 Depth=1
	s_or_b64 exec, exec, s[0:1]
.LBB22_41:                              ;   in Loop: Header=BB22_29 Depth=1
	s_or_b64 exec, exec, s[16:17]
.LBB22_42:                              ;   in Loop: Header=BB22_29 Depth=1
	s_andn2_saveexec_b64 s[0:1], s[14:15]
	s_or_b64 exec, exec, s[0:1]
                                        ; implicit-def: $vgpr10
.LBB22_43:                              ;   in Loop: Header=BB22_29 Depth=1
	s_andn2_saveexec_b64 s[0:1], s[12:13]
; %bb.44:                               ;   in Loop: Header=BB22_29 Depth=1
	v_or_b32_sdwa v10, v10, s26 dst_sel:DWORD dst_unused:UNUSED_PAD src0_sel:BYTE_3 src1_sel:DWORD
	v_cmp_eq_u64_e32 vcc, 0, v[2:3]
	v_cndmask_b32_e32 v11, v10, v11, vcc
; %bb.45:                               ;   in Loop: Header=BB22_29 Depth=1
	s_or_b64 exec, exec, s[0:1]
	v_and_b32_e32 v2, 0xffff0000, v8
	v_mul_f32_e32 v2, v1, v2
	global_store_byte v12, v11, s[2:3]
	v_bfe_u32 v11, v2, 16, 1
	v_add3_u32 v11, v2, v11, s9
	v_and_b32_e32 v11, 0xffff0000, v11
	v_cmp_o_f32_e32 vcc, v2, v2
	v_and_b32_e32 v10, 0xffff0000, v6
	v_cndmask_b32_e32 v2, v16, v11, vcc
	v_mul_f32_e32 v2, v2, v10
	v_bfe_u32 v10, v2, 16, 1
	v_add3_u32 v10, v2, v10, s9
	v_and_b32_e32 v10, 0xffff0000, v10
	v_cmp_o_f32_e32 vcc, v2, v2
	v_cndmask_b32_e32 v2, v16, v10, vcc
	v_mul_f32_e32 v2, v13, v2
	v_min_f32_e32 v2, 0x43e00000, v2
	v_max_f32_e32 v10, 0xc3e00000, v2
	v_and_b32_sdwa v19, v10, s24 dst_sel:DWORD dst_unused:UNUSED_PAD src0_sel:BYTE_3 src1_sel:DWORD
	v_and_b32_e32 v20, 0x7f800000, v10
	v_mov_b32_e32 v21, v3
	v_and_b32_e32 v2, 0x7fffff, v10
	v_or_b32_e32 v11, 0x7e, v19
	v_cmp_ne_u64_e32 vcc, s[6:7], v[20:21]
	s_and_saveexec_b64 s[0:1], vcc
	s_xor_b64 s[12:13], exec, s[0:1]
	s_cbranch_execz .LBB22_59
; %bb.46:                               ;   in Loop: Header=BB22_29 Depth=1
	v_and_b32_e32 v20, 0x7fffffff, v10
	v_mov_b32_e32 v21, v3
	v_cmp_gt_u64_e32 vcc, s[10:11], v[20:21]
	s_and_saveexec_b64 s[0:1], vcc
	s_xor_b64 s[14:15], exec, s[0:1]
	s_cbranch_execz .LBB22_58
; %bb.47:                               ;   in Loop: Header=BB22_29 Depth=1
	v_cmp_ne_u32_e32 vcc, 0, v10
	v_mov_b32_e32 v11, 0
	s_and_saveexec_b64 s[16:17], vcc
	s_cbranch_execz .LBB22_57
; %bb.48:                               ;   in Loop: Header=BB22_29 Depth=1
	v_bfe_u32 v10, v10, 23, 8
	v_sub_u32_e64 v11, s25, v10 clamp
	v_cmp_eq_u32_e32 vcc, 0, v10
	v_cndmask_b32_e32 v23, v11, v17, vcc
	v_add_u32_e32 v22, 0xffffff88, v10
	v_add_u32_e32 v10, 20, v23
	v_or_b32_e32 v20, 0x800000, v2
	v_lshlrev_b64 v[10:11], v10, -1
	v_cndmask_b32_e32 v2, v20, v2, vcc
	v_not_b32_e32 v11, v11
	v_not_b32_e32 v10, v10
	v_add_u32_e32 v20, 19, v23
	v_and_b32_e32 v11, 0, v11
	v_and_b32_e32 v10, v2, v10
	v_lshlrev_b64 v[20:21], v20, 1
	v_cmp_eq_u64_e64 s[0:1], v[10:11], v[20:21]
	s_waitcnt vmcnt(0) expcnt(0) lgkmcnt(0)
	v_swap_b32 v0, v23
	v_lshrrev_b64 v[10:11], v0, v[2:3]
	v_swap_b32 v23, v0
	v_cndmask_b32_e32 v2, v22, v18, vcc
	v_lshrrev_b32_e32 v20, 23, v10
	v_add3_u32 v20, v2, v23, v20
	v_and_b32_e32 v2, 0x100000, v10
	v_cmp_eq_u64_e32 vcc, 0, v[2:3]
	s_and_b64 vcc, vcc, s[0:1]
	v_subbrev_co_u32_e32 v2, vcc, 0, v10, vcc
	v_and_b32_e32 v2, 0xfffff, v2
	v_add_co_u32_e32 v10, vcc, v2, v10
	v_add_u32_e32 v21, -1, v20
	v_addc_co_u32_e32 v11, vcc, 0, v11, vcc
	v_cmp_ne_u32_e32 vcc, 0, v21
                                        ; implicit-def: $vgpr2
	s_and_saveexec_b64 s[0:1], vcc
	s_xor_b64 s[0:1], exec, s[0:1]
; %bb.49:                               ;   in Loop: Header=BB22_29 Depth=1
	v_and_b32_e32 v2, 0x1000000, v10
	v_cmp_eq_u64_e32 vcc, 0, v[2:3]
	v_cndmask_b32_e32 v2, v20, v21, vcc
	v_bfe_u32 v20, v10, 24, 1
	v_lshrrev_b64 v[10:11], v20, v[10:11]
; %bb.50:                               ;   in Loop: Header=BB22_29 Depth=1
	s_andn2_saveexec_b64 s[0:1], s[0:1]
; %bb.51:                               ;   in Loop: Header=BB22_29 Depth=1
	v_bfe_u32 v2, v10, 23, 1
; %bb.52:                               ;   in Loop: Header=BB22_29 Depth=1
	s_or_b64 exec, exec, s[0:1]
	v_lshrrev_b64 v[10:11], 20, v[10:11]
	v_cmp_gt_i32_e32 vcc, 16, v2
	v_cndmask_b32_e32 v11, 0, v11, vcc
	v_cndmask_b32_e32 v10, 7, v10, vcc
	v_cmp_ne_u32_e32 vcc, 0, v2
	v_cmp_ne_u64_e64 s[0:1], 0, v[10:11]
	s_or_b64 s[0:1], vcc, s[0:1]
                                        ; implicit-def: $vgpr11
	s_and_saveexec_b64 s[28:29], s[0:1]
	s_xor_b64 s[0:1], exec, s[28:29]
; %bb.53:                               ;   in Loop: Header=BB22_29 Depth=1
	v_min_i32_e32 v2, 15, v2
	v_lshl_or_b32 v2, v2, 3, v19
	v_and_or_b32 v11, v10, 7, v2
                                        ; implicit-def: $vgpr19
; %bb.54:                               ;   in Loop: Header=BB22_29 Depth=1
	s_andn2_saveexec_b64 s[0:1], s[0:1]
; %bb.55:                               ;   in Loop: Header=BB22_29 Depth=1
	v_mov_b32_e32 v11, v19
; %bb.56:                               ;   in Loop: Header=BB22_29 Depth=1
	s_or_b64 exec, exec, s[0:1]
.LBB22_57:                              ;   in Loop: Header=BB22_29 Depth=1
	s_or_b64 exec, exec, s[16:17]
.LBB22_58:                              ;   in Loop: Header=BB22_29 Depth=1
	s_andn2_saveexec_b64 s[0:1], s[14:15]
	s_or_b64 exec, exec, s[0:1]
                                        ; implicit-def: $vgpr10
.LBB22_59:                              ;   in Loop: Header=BB22_29 Depth=1
	s_andn2_saveexec_b64 s[0:1], s[12:13]
; %bb.60:                               ;   in Loop: Header=BB22_29 Depth=1
	v_or_b32_sdwa v10, v10, s26 dst_sel:DWORD dst_unused:UNUSED_PAD src0_sel:BYTE_3 src1_sel:DWORD
	v_cmp_eq_u64_e32 vcc, 0, v[2:3]
	v_cndmask_b32_e32 v11, v10, v11, vcc
; %bb.61:                               ;   in Loop: Header=BB22_29 Depth=1
	s_or_b64 exec, exec, s[0:1]
	v_add_u32_e32 v2, 1, v12
	global_store_byte v2, v11, s[2:3]
	v_alignbit_b32 v2, v9, v8, 16
	v_and_b32_e32 v2, 0xffff0000, v2
	v_mul_f32_e32 v2, v1, v2
	v_bfe_u32 v8, v2, 16, 1
	v_add3_u32 v8, v2, v8, s9
	v_and_b32_e32 v8, 0xffff0000, v8
	v_cmp_o_f32_e32 vcc, v2, v2
	v_alignbit_b32 v6, v7, v6, 16
	v_cndmask_b32_e32 v2, v16, v8, vcc
	v_and_b32_e32 v6, 0xffff0000, v6
	v_mul_f32_e32 v2, v2, v6
	v_bfe_u32 v6, v2, 16, 1
	v_add3_u32 v6, v2, v6, s9
	v_and_b32_e32 v6, 0xffff0000, v6
	v_cmp_o_f32_e32 vcc, v2, v2
	v_cndmask_b32_e32 v2, v16, v6, vcc
	v_mul_f32_e32 v2, v13, v2
	v_min_f32_e32 v2, 0x43e00000, v2
	v_max_f32_e32 v10, 0xc3e00000, v2
	v_and_b32_sdwa v6, v10, s24 dst_sel:DWORD dst_unused:UNUSED_PAD src0_sel:BYTE_3 src1_sel:DWORD
	v_and_b32_e32 v20, 0x7f800000, v10
	v_mov_b32_e32 v21, v3
	v_and_b32_e32 v2, 0x7fffff, v10
	v_or_b32_e32 v8, 0x7e, v6
	v_cmp_ne_u64_e32 vcc, s[6:7], v[20:21]
	s_and_saveexec_b64 s[0:1], vcc
	s_xor_b64 s[12:13], exec, s[0:1]
	s_cbranch_execz .LBB22_75
; %bb.62:                               ;   in Loop: Header=BB22_29 Depth=1
	v_and_b32_e32 v20, 0x7fffffff, v10
	v_mov_b32_e32 v21, v3
	v_cmp_gt_u64_e32 vcc, s[10:11], v[20:21]
	s_and_saveexec_b64 s[0:1], vcc
	s_xor_b64 s[14:15], exec, s[0:1]
	s_cbranch_execz .LBB22_74
; %bb.63:                               ;   in Loop: Header=BB22_29 Depth=1
	v_cmp_ne_u32_e32 vcc, 0, v10
	v_mov_b32_e32 v8, 0
	s_and_saveexec_b64 s[16:17], vcc
	s_cbranch_execz .LBB22_73
; %bb.64:                               ;   in Loop: Header=BB22_29 Depth=1
	v_bfe_u32 v8, v10, 23, 8
	v_sub_u32_e64 v10, s25, v8 clamp
	v_cmp_eq_u32_e32 vcc, 0, v8
	v_add_u32_e32 v19, 0xffffff88, v8
	v_cndmask_b32_e32 v8, v10, v17, vcc
	v_or_b32_e32 v11, 0x800000, v2
	v_add_u32_e32 v10, 20, v8
	v_cndmask_b32_e32 v2, v11, v2, vcc
	v_lshlrev_b64 v[10:11], v10, -1
	v_not_b32_e32 v11, v11
	v_not_b32_e32 v10, v10
	v_add_u32_e32 v20, 19, v8
	v_and_b32_e32 v11, 0, v11
	v_and_b32_e32 v10, v2, v10
	v_lshlrev_b64 v[20:21], v20, 1
	v_cmp_eq_u64_e64 s[0:1], v[10:11], v[20:21]
	v_lshrrev_b64 v[10:11], v8, v[2:3]
	v_cndmask_b32_e32 v2, v19, v18, vcc
	v_lshrrev_b32_e32 v19, 23, v10
	v_add3_u32 v8, v2, v8, v19
	v_and_b32_e32 v2, 0x100000, v10
	v_cmp_eq_u64_e32 vcc, 0, v[2:3]
	s_and_b64 vcc, vcc, s[0:1]
	v_subbrev_co_u32_e32 v2, vcc, 0, v10, vcc
	v_and_b32_e32 v2, 0xfffff, v2
	v_add_co_u32_e32 v10, vcc, v2, v10
	v_add_u32_e32 v19, -1, v8
	v_addc_co_u32_e32 v11, vcc, 0, v11, vcc
	v_cmp_ne_u32_e32 vcc, 0, v19
                                        ; implicit-def: $vgpr2
	s_and_saveexec_b64 s[0:1], vcc
	s_xor_b64 s[0:1], exec, s[0:1]
; %bb.65:                               ;   in Loop: Header=BB22_29 Depth=1
	v_and_b32_e32 v2, 0x1000000, v10
	v_cmp_eq_u64_e32 vcc, 0, v[2:3]
	v_cndmask_b32_e32 v2, v8, v19, vcc
	v_bfe_u32 v8, v10, 24, 1
	v_lshrrev_b64 v[10:11], v8, v[10:11]
; %bb.66:                               ;   in Loop: Header=BB22_29 Depth=1
	s_andn2_saveexec_b64 s[0:1], s[0:1]
; %bb.67:                               ;   in Loop: Header=BB22_29 Depth=1
	v_bfe_u32 v2, v10, 23, 1
; %bb.68:                               ;   in Loop: Header=BB22_29 Depth=1
	s_or_b64 exec, exec, s[0:1]
	v_lshrrev_b64 v[10:11], 20, v[10:11]
	v_cmp_gt_i32_e32 vcc, 16, v2
	v_cndmask_b32_e32 v11, 0, v11, vcc
	v_cndmask_b32_e32 v10, 7, v10, vcc
	v_cmp_ne_u32_e32 vcc, 0, v2
	v_cmp_ne_u64_e64 s[0:1], 0, v[10:11]
	s_or_b64 s[0:1], vcc, s[0:1]
                                        ; implicit-def: $vgpr8
	s_and_saveexec_b64 s[28:29], s[0:1]
	s_xor_b64 s[0:1], exec, s[28:29]
; %bb.69:                               ;   in Loop: Header=BB22_29 Depth=1
	v_min_i32_e32 v2, 15, v2
	v_lshl_or_b32 v2, v2, 3, v6
	v_and_or_b32 v8, v10, 7, v2
                                        ; implicit-def: $vgpr6
; %bb.70:                               ;   in Loop: Header=BB22_29 Depth=1
	s_andn2_saveexec_b64 s[0:1], s[0:1]
; %bb.71:                               ;   in Loop: Header=BB22_29 Depth=1
	v_mov_b32_e32 v8, v6
; %bb.72:                               ;   in Loop: Header=BB22_29 Depth=1
	s_or_b64 exec, exec, s[0:1]
.LBB22_73:                              ;   in Loop: Header=BB22_29 Depth=1
	s_or_b64 exec, exec, s[16:17]
.LBB22_74:                              ;   in Loop: Header=BB22_29 Depth=1
	s_andn2_saveexec_b64 s[0:1], s[14:15]
	s_or_b64 exec, exec, s[0:1]
                                        ; implicit-def: $vgpr10
.LBB22_75:                              ;   in Loop: Header=BB22_29 Depth=1
	s_andn2_saveexec_b64 s[0:1], s[12:13]
; %bb.76:                               ;   in Loop: Header=BB22_29 Depth=1
	v_or_b32_sdwa v6, v10, s26 dst_sel:DWORD dst_unused:UNUSED_PAD src0_sel:BYTE_3 src1_sel:DWORD
	v_cmp_eq_u64_e32 vcc, 0, v[2:3]
	v_cndmask_b32_e32 v8, v6, v8, vcc
; %bb.77:                               ;   in Loop: Header=BB22_29 Depth=1
	s_or_b64 exec, exec, s[0:1]
	v_add_u32_e32 v2, 2, v12
	global_store_byte v2, v8, s[2:3]
	v_and_b32_e32 v2, 0xffff0000, v9
	v_mul_f32_e32 v2, v1, v2
	v_bfe_u32 v6, v2, 16, 1
	v_add3_u32 v6, v2, v6, s9
	v_and_b32_e32 v6, 0xffff0000, v6
	v_cmp_o_f32_e32 vcc, v2, v2
	v_cndmask_b32_e32 v2, v16, v6, vcc
	v_and_b32_e32 v6, 0xffff0000, v7
	v_mul_f32_e32 v2, v2, v6
	v_bfe_u32 v6, v2, 16, 1
	v_add3_u32 v6, v2, v6, s9
	v_and_b32_e32 v6, 0xffff0000, v6
	v_cmp_o_f32_e32 vcc, v2, v2
	v_cndmask_b32_e32 v2, v16, v6, vcc
	v_mul_f32_e32 v2, v13, v2
	v_min_f32_e32 v2, 0x43e00000, v2
	v_max_f32_e32 v6, 0xc3e00000, v2
	v_and_b32_sdwa v8, v6, s24 dst_sel:DWORD dst_unused:UNUSED_PAD src0_sel:BYTE_3 src1_sel:DWORD
	v_and_b32_e32 v10, 0x7f800000, v6
	v_mov_b32_e32 v11, v3
	v_and_b32_e32 v2, 0x7fffff, v6
	v_or_b32_e32 v7, 0x7e, v8
	v_cmp_ne_u64_e32 vcc, s[6:7], v[10:11]
	s_and_saveexec_b64 s[0:1], vcc
	s_xor_b64 s[12:13], exec, s[0:1]
	s_cbranch_execz .LBB22_91
; %bb.78:                               ;   in Loop: Header=BB22_29 Depth=1
	v_and_b32_e32 v10, 0x7fffffff, v6
	v_mov_b32_e32 v11, v3
	v_cmp_gt_u64_e32 vcc, s[10:11], v[10:11]
	s_and_saveexec_b64 s[0:1], vcc
	s_xor_b64 s[14:15], exec, s[0:1]
	s_cbranch_execz .LBB22_90
; %bb.79:                               ;   in Loop: Header=BB22_29 Depth=1
	v_cmp_ne_u32_e32 vcc, 0, v6
	v_mov_b32_e32 v7, 0
	s_and_saveexec_b64 s[16:17], vcc
	s_cbranch_execz .LBB22_89
; %bb.80:                               ;   in Loop: Header=BB22_29 Depth=1
	v_bfe_u32 v6, v6, 23, 8
	v_sub_u32_e64 v7, s25, v6 clamp
	v_cmp_eq_u32_e32 vcc, 0, v6
	v_cndmask_b32_e32 v20, v7, v17, vcc
	v_add_u32_e32 v19, 0xffffff88, v6
	v_add_u32_e32 v6, 20, v20
	v_or_b32_e32 v9, 0x800000, v2
	v_lshlrev_b64 v[6:7], v6, -1
	v_cndmask_b32_e32 v2, v9, v2, vcc
	v_not_b32_e32 v7, v7
	v_not_b32_e32 v6, v6
	v_add_u32_e32 v9, 19, v20
	v_and_b32_e32 v7, 0, v7
	v_and_b32_e32 v6, v2, v6
	v_lshlrev_b64 v[10:11], v9, 1
	v_cmp_eq_u64_e64 s[0:1], v[6:7], v[10:11]
	v_lshrrev_b64 v[6:7], v20, v[2:3]
	v_cndmask_b32_e32 v2, v19, v18, vcc
	v_lshrrev_b32_e32 v9, 23, v6
	v_add3_u32 v9, v2, v20, v9
	v_and_b32_e32 v2, 0x100000, v6
	v_cmp_eq_u64_e32 vcc, 0, v[2:3]
	s_and_b64 vcc, vcc, s[0:1]
	v_subbrev_co_u32_e32 v2, vcc, 0, v6, vcc
	v_and_b32_e32 v2, 0xfffff, v2
	v_add_co_u32_e32 v6, vcc, v2, v6
	v_add_u32_e32 v10, -1, v9
	v_addc_co_u32_e32 v7, vcc, 0, v7, vcc
	v_cmp_ne_u32_e32 vcc, 0, v10
                                        ; implicit-def: $vgpr2
	s_and_saveexec_b64 s[0:1], vcc
	s_xor_b64 s[0:1], exec, s[0:1]
; %bb.81:                               ;   in Loop: Header=BB22_29 Depth=1
	v_and_b32_e32 v2, 0x1000000, v6
	v_cmp_eq_u64_e32 vcc, 0, v[2:3]
	v_cndmask_b32_e32 v2, v9, v10, vcc
	v_bfe_u32 v9, v6, 24, 1
	v_lshrrev_b64 v[6:7], v9, v[6:7]
; %bb.82:                               ;   in Loop: Header=BB22_29 Depth=1
	s_andn2_saveexec_b64 s[0:1], s[0:1]
; %bb.83:                               ;   in Loop: Header=BB22_29 Depth=1
	v_bfe_u32 v2, v6, 23, 1
; %bb.84:                               ;   in Loop: Header=BB22_29 Depth=1
	s_or_b64 exec, exec, s[0:1]
	v_lshrrev_b64 v[6:7], 20, v[6:7]
	v_cmp_gt_i32_e32 vcc, 16, v2
	v_cndmask_b32_e32 v7, 0, v7, vcc
	v_cndmask_b32_e32 v6, 7, v6, vcc
	v_cmp_ne_u32_e32 vcc, 0, v2
	v_cmp_ne_u64_e64 s[0:1], 0, v[6:7]
	s_or_b64 s[0:1], vcc, s[0:1]
                                        ; implicit-def: $vgpr7
	s_and_saveexec_b64 s[28:29], s[0:1]
	s_xor_b64 s[0:1], exec, s[28:29]
; %bb.85:                               ;   in Loop: Header=BB22_29 Depth=1
	v_min_i32_e32 v2, 15, v2
	v_lshl_or_b32 v2, v2, 3, v8
	v_and_or_b32 v7, v6, 7, v2
                                        ; implicit-def: $vgpr8
; %bb.86:                               ;   in Loop: Header=BB22_29 Depth=1
	s_andn2_saveexec_b64 s[0:1], s[0:1]
; %bb.87:                               ;   in Loop: Header=BB22_29 Depth=1
	v_mov_b32_e32 v7, v8
; %bb.88:                               ;   in Loop: Header=BB22_29 Depth=1
	s_or_b64 exec, exec, s[0:1]
.LBB22_89:                              ;   in Loop: Header=BB22_29 Depth=1
	s_or_b64 exec, exec, s[16:17]
.LBB22_90:                              ;   in Loop: Header=BB22_29 Depth=1
	s_andn2_saveexec_b64 s[0:1], s[14:15]
	s_or_b64 exec, exec, s[0:1]
                                        ; implicit-def: $vgpr6
.LBB22_91:                              ;   in Loop: Header=BB22_29 Depth=1
	s_andn2_saveexec_b64 s[0:1], s[12:13]
	s_cbranch_execz .LBB22_28
; %bb.92:                               ;   in Loop: Header=BB22_29 Depth=1
	v_or_b32_sdwa v6, v6, s26 dst_sel:DWORD dst_unused:UNUSED_PAD src0_sel:BYTE_3 src1_sel:DWORD
	v_cmp_eq_u64_e32 vcc, 0, v[2:3]
	v_cndmask_b32_e32 v7, v6, v7, vcc
	s_branch .LBB22_28
.LBB22_93:
	s_endpgm
	.section	.rodata,"a",@progbits
	.p2align	6, 0x0
	.amdhsa_kernel _ZN4vllm32rms_norm_static_fp8_quant_kernelIN3c108BFloat16ENS1_13Float8_e4m3fnELi4EEEvPT0_PKT_iS8_PKffii
		.amdhsa_group_segment_fixed_size 68
		.amdhsa_private_segment_fixed_size 0
		.amdhsa_kernarg_size 312
		.amdhsa_user_sgpr_count 6
		.amdhsa_user_sgpr_private_segment_buffer 1
		.amdhsa_user_sgpr_dispatch_ptr 0
		.amdhsa_user_sgpr_queue_ptr 0
		.amdhsa_user_sgpr_kernarg_segment_ptr 1
		.amdhsa_user_sgpr_dispatch_id 0
		.amdhsa_user_sgpr_flat_scratch_init 0
		.amdhsa_user_sgpr_kernarg_preload_length 0
		.amdhsa_user_sgpr_kernarg_preload_offset 0
		.amdhsa_user_sgpr_private_segment_size 0
		.amdhsa_uses_dynamic_stack 0
		.amdhsa_system_sgpr_private_segment_wavefront_offset 0
		.amdhsa_system_sgpr_workgroup_id_x 1
		.amdhsa_system_sgpr_workgroup_id_y 0
		.amdhsa_system_sgpr_workgroup_id_z 0
		.amdhsa_system_sgpr_workgroup_info 0
		.amdhsa_system_vgpr_workitem_id 0
		.amdhsa_next_free_vgpr 24
		.amdhsa_next_free_sgpr 30
		.amdhsa_accum_offset 24
		.amdhsa_reserve_vcc 1
		.amdhsa_reserve_flat_scratch 0
		.amdhsa_float_round_mode_32 0
		.amdhsa_float_round_mode_16_64 0
		.amdhsa_float_denorm_mode_32 3
		.amdhsa_float_denorm_mode_16_64 3
		.amdhsa_dx10_clamp 1
		.amdhsa_ieee_mode 1
		.amdhsa_fp16_overflow 0
		.amdhsa_tg_split 0
		.amdhsa_exception_fp_ieee_invalid_op 0
		.amdhsa_exception_fp_denorm_src 0
		.amdhsa_exception_fp_ieee_div_zero 0
		.amdhsa_exception_fp_ieee_overflow 0
		.amdhsa_exception_fp_ieee_underflow 0
		.amdhsa_exception_fp_ieee_inexact 0
		.amdhsa_exception_int_div_zero 0
	.end_amdhsa_kernel
	.section	.text._ZN4vllm32rms_norm_static_fp8_quant_kernelIN3c108BFloat16ENS1_13Float8_e4m3fnELi4EEEvPT0_PKT_iS8_PKffii,"axG",@progbits,_ZN4vllm32rms_norm_static_fp8_quant_kernelIN3c108BFloat16ENS1_13Float8_e4m3fnELi4EEEvPT0_PKT_iS8_PKffii,comdat
.Lfunc_end22:
	.size	_ZN4vllm32rms_norm_static_fp8_quant_kernelIN3c108BFloat16ENS1_13Float8_e4m3fnELi4EEEvPT0_PKT_iS8_PKffii, .Lfunc_end22-_ZN4vllm32rms_norm_static_fp8_quant_kernelIN3c108BFloat16ENS1_13Float8_e4m3fnELi4EEEvPT0_PKT_iS8_PKffii
                                        ; -- End function
	.section	.AMDGPU.csdata,"",@progbits
; Kernel info:
; codeLenInByte = 4120
; NumSgprs: 34
; NumVgprs: 24
; NumAgprs: 0
; TotalNumVgprs: 24
; ScratchSize: 0
; MemoryBound: 0
; FloatMode: 240
; IeeeMode: 1
; LDSByteSize: 68 bytes/workgroup (compile time only)
; SGPRBlocks: 4
; VGPRBlocks: 2
; NumSGPRsForWavesPerEU: 34
; NumVGPRsForWavesPerEU: 24
; AccumOffset: 24
; Occupancy: 8
; WaveLimiterHint : 0
; COMPUTE_PGM_RSRC2:SCRATCH_EN: 0
; COMPUTE_PGM_RSRC2:USER_SGPR: 6
; COMPUTE_PGM_RSRC2:TRAP_HANDLER: 0
; COMPUTE_PGM_RSRC2:TGID_X_EN: 1
; COMPUTE_PGM_RSRC2:TGID_Y_EN: 0
; COMPUTE_PGM_RSRC2:TGID_Z_EN: 0
; COMPUTE_PGM_RSRC2:TIDIG_COMP_CNT: 0
; COMPUTE_PGM_RSRC3_GFX90A:ACCUM_OFFSET: 5
; COMPUTE_PGM_RSRC3_GFX90A:TG_SPLIT: 0
	.section	.text._ZN4vllm32rms_norm_static_fp8_quant_kernelIN3c108BFloat16ENS1_13Float8_e4m3fnELi2EEEvPT0_PKT_iS8_PKffii,"axG",@progbits,_ZN4vllm32rms_norm_static_fp8_quant_kernelIN3c108BFloat16ENS1_13Float8_e4m3fnELi2EEEvPT0_PKT_iS8_PKffii,comdat
	.protected	_ZN4vllm32rms_norm_static_fp8_quant_kernelIN3c108BFloat16ENS1_13Float8_e4m3fnELi2EEEvPT0_PKT_iS8_PKffii ; -- Begin function _ZN4vllm32rms_norm_static_fp8_quant_kernelIN3c108BFloat16ENS1_13Float8_e4m3fnELi2EEEvPT0_PKT_iS8_PKffii
	.globl	_ZN4vllm32rms_norm_static_fp8_quant_kernelIN3c108BFloat16ENS1_13Float8_e4m3fnELi2EEEvPT0_PKT_iS8_PKffii
	.p2align	8
	.type	_ZN4vllm32rms_norm_static_fp8_quant_kernelIN3c108BFloat16ENS1_13Float8_e4m3fnELi2EEEvPT0_PKT_iS8_PKffii,@function
_ZN4vllm32rms_norm_static_fp8_quant_kernelIN3c108BFloat16ENS1_13Float8_e4m3fnELi2EEEvPT0_PKT_iS8_PKffii: ; @_ZN4vllm32rms_norm_static_fp8_quant_kernelIN3c108BFloat16ENS1_13Float8_e4m3fnELi2EEEvPT0_PKT_iS8_PKffii
; %bb.0:
	s_load_dword s2, s[4:5], 0x10
	s_load_dwordx2 s[0:1], s[4:5], 0x8
	s_load_dword s7, s[4:5], 0x30
	s_load_dword s12, s[4:5], 0x44
	s_mov_b32 s11, 0
	s_waitcnt lgkmcnt(0)
	s_mul_i32 s10, s6, s2
	s_lshl_b64 s[8:9], s[10:11], 1
	s_add_u32 s2, s0, s8
	s_addc_u32 s3, s1, s9
	s_and_b32 s20, s12, 0xffff
	s_and_b32 s10, s2, 3
	s_cmp_lg_u64 s[10:11], 0
	s_cselect_b64 s[10:11], -1, 0
	s_bitcmp1_b32 s7, 0
	s_cselect_b64 s[12:13], -1, 0
	s_or_b64 s[10:11], s[10:11], s[12:13]
	s_and_b64 vcc, exec, s[10:11]
	s_cbranch_vccz .LBB23_13
; %bb.1:
	s_sub_i32 s10, 0, s2
	s_bfe_u32 s10, s10, 0x10001
	s_min_i32 s10, s10, s7
	v_cmp_gt_i32_e32 vcc, s10, v0
	v_mov_b32_e32 v1, 0
	s_and_saveexec_b64 s[12:13], vcc
	s_cbranch_execz .LBB23_4
; %bb.2:
	s_lshl_b32 s11, s20, 1
	s_mov_b32 s16, 0
	v_mov_b32_e32 v2, 0
	s_mov_b64 s[14:15], s[2:3]
	v_mov_b32_e32 v1, 0
.LBB23_3:                               ; =>This Inner Loop Header: Depth=1
	global_load_ushort v3, v2, s[14:15]
	s_add_i32 s16, s16, s20
	s_add_u32 s14, s14, s11
	s_addc_u32 s15, s15, 0
	s_cmp_ge_i32 s16, s10
	s_waitcnt vmcnt(0)
	v_lshlrev_b32_e32 v3, 16, v3
	v_fmac_f32_e32 v1, v3, v3
	s_cbranch_scc0 .LBB23_3
.LBB23_4:
	s_or_b64 exec, exec, s[12:13]
	s_sub_i32 s16, s7, s10
	s_lshr_b32 s12, s16, 31
	s_add_i32 s12, s16, s12
	s_ashr_i32 s17, s12, 1
	s_ashr_i32 s11, s10, 31
	v_cmp_gt_i32_e32 vcc, s17, v0
	s_and_saveexec_b64 s[12:13], vcc
	s_cbranch_execz .LBB23_8
; %bb.5:
	s_lshl_b64 s[14:15], s[10:11], 1
	s_add_u32 s18, s0, s8
	s_addc_u32 s21, s1, s9
	s_add_u32 s14, s18, s14
	v_lshlrev_b32_e32 v2, 2, v0
	s_addc_u32 s15, s21, s15
	s_mov_b32 s19, 0
	v_mov_b32_e32 v3, s15
	v_add_co_u32_e32 v2, vcc, s14, v2
	v_addc_co_u32_e32 v3, vcc, 0, v3, vcc
	s_lshl_b32 s18, s20, 2
	s_mov_b64 s[14:15], 0
	v_mov_b32_e32 v4, s19
	v_mov_b32_e32 v5, v0
.LBB23_6:                               ; =>This Inner Loop Header: Depth=1
	global_load_dword v6, v[2:3], off
	v_add_co_u32_e32 v2, vcc, s18, v2
	v_add_u32_e32 v5, s20, v5
	v_addc_co_u32_e32 v3, vcc, v3, v4, vcc
	v_cmp_le_i32_e32 vcc, s17, v5
	s_or_b64 s[14:15], vcc, s[14:15]
	s_waitcnt vmcnt(0)
	v_and_b32_e32 v7, 0xffff0000, v6
	v_lshlrev_b32_e32 v6, 16, v6
	v_pk_mul_f32 v[6:7], v[6:7], v[6:7]
	v_add_f32_e32 v1, v1, v6
	v_add_f32_e32 v1, v1, v7
	s_andn2_b64 exec, exec, s[14:15]
	s_cbranch_execnz .LBB23_6
; %bb.7:
	s_or_b64 exec, exec, s[14:15]
.LBB23_8:
	s_or_b64 exec, exec, s[12:13]
	v_lshl_add_u32 v2, s17, 1, v0
	v_cmp_gt_i32_e32 vcc, s16, v2
	s_and_saveexec_b64 s[12:13], vcc
	s_cbranch_execz .LBB23_12
; %bb.9:
	s_lshl_b64 s[10:11], s[10:11], 1
	s_add_u32 s14, s0, s8
	s_addc_u32 s15, s1, s9
	v_ashrrev_i32_e32 v3, 31, v2
	s_add_u32 s10, s14, s10
	v_lshlrev_b64 v[4:5], 1, v[2:3]
	s_addc_u32 s11, s15, s11
	v_mov_b32_e32 v3, s11
	v_add_co_u32_e32 v4, vcc, s10, v4
	s_mov_b32 s15, 0
	v_addc_co_u32_e32 v5, vcc, v3, v5, vcc
	s_lshl_b32 s14, s20, 1
	s_mov_b64 s[10:11], 0
	v_mov_b32_e32 v3, s15
.LBB23_10:                              ; =>This Inner Loop Header: Depth=1
	global_load_ushort v6, v[4:5], off
	v_add_co_u32_e32 v4, vcc, s14, v4
	v_add_u32_e32 v2, s20, v2
	v_addc_co_u32_e32 v5, vcc, v5, v3, vcc
	v_cmp_le_i32_e32 vcc, s16, v2
	s_or_b64 s[10:11], vcc, s[10:11]
	s_waitcnt vmcnt(0)
	v_lshlrev_b32_e32 v6, 16, v6
	v_fmac_f32_e32 v1, v6, v6
	s_andn2_b64 exec, exec, s[10:11]
	s_cbranch_execnz .LBB23_10
; %bb.11:
	s_or_b64 exec, exec, s[10:11]
.LBB23_12:
	s_or_b64 exec, exec, s[12:13]
	s_branch .LBB23_19
.LBB23_13:
                                        ; implicit-def: $vgpr1
	s_cbranch_execz .LBB23_19
; %bb.14:
	s_ashr_i32 s12, s7, 1
	v_cmp_gt_i32_e32 vcc, s12, v0
	v_mov_b32_e32 v1, 0
	s_and_saveexec_b64 s[10:11], vcc
	s_cbranch_execz .LBB23_18
; %bb.15:
	s_add_u32 s0, s0, s8
	v_lshlrev_b32_e32 v1, 2, v0
	s_addc_u32 s1, s1, s9
	s_mov_b32 s13, 0
	v_mov_b32_e32 v3, s1
	v_add_co_u32_e32 v2, vcc, s0, v1
	v_addc_co_u32_e32 v3, vcc, 0, v3, vcc
	s_lshl_b32 s8, s20, 2
	s_mov_b64 s[0:1], 0
	v_mov_b32_e32 v1, 0
	v_mov_b32_e32 v4, s13
	;; [unrolled: 1-line block ×3, first 2 shown]
.LBB23_16:                              ; =>This Inner Loop Header: Depth=1
	global_load_dword v7, v[2:3], off
	v_add_co_u32_e32 v2, vcc, s8, v2
	v_add_u32_e32 v5, s20, v5
	v_addc_co_u32_e32 v3, vcc, v3, v4, vcc
	v_cmp_le_i32_e32 vcc, s12, v5
	s_or_b64 s[0:1], vcc, s[0:1]
	s_waitcnt vmcnt(0)
	v_and_b32_e32 v6, 0xffff0000, v7
	v_lshlrev_b32_e32 v7, 16, v7
	v_pk_mul_f32 v[6:7], v[6:7], v[6:7]
	v_add_f32_e32 v1, v1, v7
	v_add_f32_e32 v1, v6, v1
	s_andn2_b64 exec, exec, s[0:1]
	s_cbranch_execnz .LBB23_16
; %bb.17:
	s_or_b64 exec, exec, s[0:1]
.LBB23_18:
	s_or_b64 exec, exec, s[10:11]
.LBB23_19:
	v_mbcnt_lo_u32_b32 v2, -1, 0
	v_mbcnt_hi_u32_b32 v2, -1, v2
	v_and_b32_e32 v3, 63, v2
	v_cmp_ne_u32_e32 vcc, 63, v3
	v_addc_co_u32_e32 v4, vcc, 0, v2, vcc
	v_lshlrev_b32_e32 v4, 2, v4
	ds_bpermute_b32 v4, v4, v1
	v_and_b32_e32 v5, 0x3c0, v0
	v_sub_u32_e64 v5, s20, v5 clamp
	v_add_u32_e32 v6, 1, v2
	v_cmp_lt_u32_e32 vcc, v6, v5
	s_waitcnt lgkmcnt(0)
	v_add_f32_e32 v4, v1, v4
	v_cndmask_b32_e32 v1, v1, v4, vcc
	v_cmp_gt_u32_e32 vcc, 62, v3
	v_cndmask_b32_e64 v4, 0, 1, vcc
	v_lshlrev_b32_e32 v4, 1, v4
	v_add_lshl_u32 v4, v4, v2, 2
	ds_bpermute_b32 v4, v4, v1
	v_add_u32_e32 v6, 2, v2
	v_cmp_lt_u32_e32 vcc, v6, v5
	v_add_u32_e32 v6, 4, v2
	s_waitcnt lgkmcnt(0)
	v_add_f32_e32 v4, v1, v4
	v_cndmask_b32_e32 v1, v1, v4, vcc
	v_cmp_gt_u32_e32 vcc, 60, v3
	v_cndmask_b32_e64 v4, 0, 1, vcc
	v_lshlrev_b32_e32 v4, 2, v4
	v_add_lshl_u32 v4, v4, v2, 2
	ds_bpermute_b32 v4, v4, v1
	v_cmp_lt_u32_e32 vcc, v6, v5
	v_add_u32_e32 v6, 8, v2
	s_waitcnt lgkmcnt(0)
	v_add_f32_e32 v4, v1, v4
	v_cndmask_b32_e32 v1, v1, v4, vcc
	v_cmp_gt_u32_e32 vcc, 56, v3
	v_cndmask_b32_e64 v4, 0, 1, vcc
	v_lshlrev_b32_e32 v4, 3, v4
	v_add_lshl_u32 v4, v4, v2, 2
	ds_bpermute_b32 v4, v4, v1
	;; [unrolled: 10-line block ×3, first 2 shown]
	v_cmp_lt_u32_e32 vcc, v6, v5
	s_waitcnt lgkmcnt(0)
	v_add_f32_e32 v4, v1, v4
	v_cndmask_b32_e32 v1, v1, v4, vcc
	v_cmp_gt_u32_e32 vcc, 32, v3
	v_cndmask_b32_e64 v3, 0, 1, vcc
	v_lshlrev_b32_e32 v3, 5, v3
	v_add_lshl_u32 v3, v3, v2, 2
	ds_bpermute_b32 v3, v3, v1
	v_add_u32_e32 v4, 32, v2
	v_cmp_lt_u32_e32 vcc, v4, v5
	s_waitcnt lgkmcnt(0)
	v_add_f32_e32 v3, v1, v3
	v_cndmask_b32_e32 v1, v1, v3, vcc
	v_cmp_eq_u32_e32 vcc, 0, v2
	s_and_saveexec_b64 s[0:1], vcc
	s_cbranch_execz .LBB23_21
; %bb.20:
	v_lshrrev_b32_e32 v3, 4, v0
	v_and_b32_e32 v3, 60, v3
	ds_write_b32 v3, v1
.LBB23_21:
	s_or_b64 exec, exec, s[0:1]
	v_cmp_gt_u32_e32 vcc, 16, v0
	s_waitcnt lgkmcnt(0)
	s_barrier
	s_and_saveexec_b64 s[8:9], vcc
	s_cbranch_execz .LBB23_23
; %bb.22:
	v_lshlrev_b32_e32 v1, 2, v2
	ds_read_b32 v1, v1
	v_and_b32_e32 v3, 15, v2
	v_cmp_ne_u32_e32 vcc, 15, v3
	v_addc_co_u32_e32 v4, vcc, 0, v2, vcc
	v_lshlrev_b32_e32 v4, 2, v4
	s_waitcnt lgkmcnt(0)
	ds_bpermute_b32 v4, v4, v1
	s_add_i32 s0, s20, 63
	s_lshr_b32 s10, s0, 6
	v_add_u32_e32 v5, 1, v3
	v_cmp_gt_u32_e64 s[0:1], 14, v3
	v_cmp_gt_u32_e32 vcc, s10, v5
	v_cndmask_b32_e64 v5, 0, 1, s[0:1]
	s_waitcnt lgkmcnt(0)
	v_add_f32_e32 v4, v1, v4
	v_lshlrev_b32_e32 v5, 1, v5
	v_cndmask_b32_e32 v4, v1, v4, vcc
	v_add_lshl_u32 v5, v5, v2, 2
	ds_bpermute_b32 v5, v5, v4
	v_add_u32_e32 v6, 2, v3
	v_cmp_gt_u32_e64 s[0:1], s10, v6
	v_add_u32_e32 v6, 4, v3
	s_waitcnt lgkmcnt(0)
	v_add_f32_e32 v5, v4, v5
	v_cndmask_b32_e64 v4, v4, v5, s[0:1]
	v_cmp_gt_u32_e64 s[0:1], 12, v3
	v_cndmask_b32_e64 v5, 0, 1, s[0:1]
	v_lshlrev_b32_e32 v5, 2, v5
	v_add_lshl_u32 v5, v5, v2, 2
	ds_bpermute_b32 v5, v5, v4
	v_cmp_gt_u32_e64 s[0:1], s10, v6
	s_waitcnt lgkmcnt(0)
	v_add_f32_e32 v5, v4, v5
	v_cndmask_b32_e64 v4, v4, v5, s[0:1]
	v_cmp_gt_u32_e64 s[0:1], 8, v3
	v_cndmask_b32_e64 v5, 0, 1, s[0:1]
	v_lshlrev_b32_e32 v5, 3, v5
	v_add_lshl_u32 v2, v5, v2, 2
	ds_bpermute_b32 v2, v2, v4
	v_add_u32_e32 v3, 8, v3
	v_cmp_gt_u32_e64 s[0:1], s10, v3
	s_waitcnt lgkmcnt(0)
	v_add_f32_e32 v2, v4, v2
	v_cndmask_b32_e64 v2, v4, v2, s[0:1]
	v_cndmask_b32_e32 v1, v1, v2, vcc
.LBB23_23:
	s_or_b64 exec, exec, s[8:9]
	v_cmp_eq_u32_e32 vcc, 0, v0
	s_and_saveexec_b64 s[0:1], vcc
	s_cbranch_execz .LBB23_25
; %bb.24:
	v_cvt_f32_i32_e32 v2, s7
	s_load_dword s10, s[4:5], 0x28
	v_div_scale_f32 v3, s[8:9], v2, v2, v1
	v_rcp_f32_e32 v4, v3
	v_div_scale_f32 v5, vcc, v1, v2, v1
	s_mov_b32 s8, 0x800000
	v_fma_f32 v6, -v3, v4, 1.0
	v_fmac_f32_e32 v4, v6, v4
	v_mul_f32_e32 v6, v5, v4
	v_fma_f32 v7, -v3, v6, v5
	v_fmac_f32_e32 v6, v7, v4
	v_fma_f32 v3, -v3, v6, v5
	v_div_fmas_f32 v3, v3, v4, v6
	v_div_fixup_f32 v1, v3, v2, v1
	s_waitcnt lgkmcnt(0)
	v_add_f32_e32 v1, s10, v1
	v_mul_f32_e32 v2, 0x4b800000, v1
	v_cmp_gt_f32_e32 vcc, s8, v1
	v_cndmask_b32_e32 v1, v1, v2, vcc
	v_rsq_f32_e32 v1, v1
	v_mul_f32_e32 v2, 0x45800000, v1
	v_cndmask_b32_e32 v1, v1, v2, vcc
	v_mov_b32_e32 v2, 0
	ds_write_b32 v2, v1 offset:64
.LBB23_25:
	s_or_b64 exec, exec, s[0:1]
	s_lshr_b32 s0, s7, 31
	s_add_i32 s0, s7, s0
	s_ashr_i32 s21, s0, 1
	v_cmp_gt_i32_e32 vcc, s21, v0
	s_waitcnt lgkmcnt(0)
	s_barrier
	s_and_saveexec_b64 s[0:1], vcc
	s_cbranch_execz .LBB23_60
; %bb.26:
	s_load_dwordx4 s[8:11], s[4:5], 0x18
	s_load_dwordx2 s[12:13], s[4:5], 0x0
	v_mov_b32_e32 v3, 0
	ds_read_b32 v1, v3 offset:64
	s_mul_i32 s6, s6, s7
	s_waitcnt lgkmcnt(0)
	s_load_dword s4, s[10:11], 0x0
	v_lshlrev_b32_e32 v2, 2, v0
	s_lshl_b32 s22, s20, 1
	v_lshl_add_u32 v8, v0, 1, s6
	s_mov_b32 s23, 0
	s_waitcnt lgkmcnt(0)
	v_div_scale_f32 v4, s[0:1], s4, s4, 1.0
	v_rcp_f32_e32 v5, v4
	v_div_scale_f32 v6, vcc, 1.0, s4, 1.0
	s_lshl_b32 s24, s20, 2
	v_fma_f32 v7, -v4, v5, 1.0
	v_fmac_f32_e32 v5, v7, v5
	v_mul_f32_e32 v7, v6, v5
	v_fma_f32 v9, -v4, v7, v6
	v_fmac_f32_e32 v7, v9, v5
	v_fma_f32 v4, -v4, v7, v6
	v_div_fmas_f32 v4, v4, v5, v7
	v_div_fixup_f32 v9, v4, s4, 1.0
	s_mov_b64 s[4:5], 0
	v_mov_b32_e32 v10, s3
	v_mov_b32_e32 v11, s9
	s_movk_i32 s3, 0x7fff
	v_mov_b32_e32 v12, 0x7fc00000
	s_movk_i32 s9, 0x80
	s_mov_b64 s[6:7], 0x7f800000
	s_mov_b64 s[10:11], 0x43e00001
	s_movk_i32 s25, 0x79
	s_movk_i32 s26, 0x7f
	v_mov_b32_e32 v13, 0x78
	v_mov_b32_e32 v14, 0xffffff89
	v_pk_mov_b32 v[4:5], v[2:3], v[2:3] op_sel:[0,1]
	s_branch .LBB23_28
.LBB23_27:                              ;   in Loop: Header=BB23_28 Depth=1
	s_or_b64 exec, exec, s[0:1]
	v_add_u32_e32 v0, s20, v0
	v_add_u32_e32 v2, 1, v8
	v_cmp_le_i32_e32 vcc, s21, v0
	global_store_byte v2, v7, s[12:13]
	v_mov_b32_e32 v2, s23
	s_or_b64 s[4:5], vcc, s[4:5]
	v_add_co_u32_e32 v4, vcc, s24, v4
	v_add_u32_e32 v8, s22, v8
	v_addc_co_u32_e32 v5, vcc, v5, v2, vcc
	s_andn2_b64 exec, exec, s[4:5]
	s_cbranch_execz .LBB23_60
.LBB23_28:                              ; =>This Inner Loop Header: Depth=1
	v_add_co_u32_e32 v6, vcc, s2, v4
	v_addc_co_u32_e32 v7, vcc, v10, v5, vcc
	global_load_dword v15, v[6:7], off
	v_add_co_u32_e32 v6, vcc, s8, v4
	v_addc_co_u32_e32 v7, vcc, v11, v5, vcc
	global_load_dword v16, v[6:7], off
	v_mov_b32_e32 v19, v3
	s_waitcnt vmcnt(1)
	v_lshlrev_b32_e32 v2, 16, v15
	v_mul_f32_e32 v2, v1, v2
	v_bfe_u32 v7, v2, 16, 1
	v_add3_u32 v7, v2, v7, s3
	v_and_b32_e32 v7, 0xffff0000, v7
	v_cmp_o_f32_e32 vcc, v2, v2
	s_waitcnt vmcnt(0)
	v_lshlrev_b32_e32 v6, 16, v16
	v_cndmask_b32_e32 v2, v12, v7, vcc
	v_mul_f32_e32 v2, v2, v6
	v_bfe_u32 v6, v2, 16, 1
	v_add3_u32 v6, v2, v6, s3
	v_and_b32_e32 v6, 0xffff0000, v6
	v_cmp_o_f32_e32 vcc, v2, v2
	v_cndmask_b32_e32 v2, v12, v6, vcc
	v_mul_f32_e32 v2, v9, v2
	v_min_f32_e32 v2, 0x43e00000, v2
	v_max_f32_e32 v6, 0xc3e00000, v2
	v_and_b32_sdwa v17, v6, s9 dst_sel:DWORD dst_unused:UNUSED_PAD src0_sel:BYTE_3 src1_sel:DWORD
	v_and_b32_e32 v18, 0x7f800000, v6
	v_and_b32_e32 v2, 0x7fffff, v6
	v_or_b32_e32 v7, 0x7e, v17
	v_cmp_ne_u64_e32 vcc, s[6:7], v[18:19]
	s_and_saveexec_b64 s[0:1], vcc
	s_xor_b64 s[14:15], exec, s[0:1]
	s_cbranch_execz .LBB23_42
; %bb.29:                               ;   in Loop: Header=BB23_28 Depth=1
	v_and_b32_e32 v18, 0x7fffffff, v6
	v_mov_b32_e32 v19, v3
	v_cmp_gt_u64_e32 vcc, s[10:11], v[18:19]
	s_and_saveexec_b64 s[0:1], vcc
	s_xor_b64 s[16:17], exec, s[0:1]
	s_cbranch_execz .LBB23_41
; %bb.30:                               ;   in Loop: Header=BB23_28 Depth=1
	v_cmp_ne_u32_e32 vcc, 0, v6
	v_mov_b32_e32 v7, 0
	s_and_saveexec_b64 s[18:19], vcc
	s_cbranch_execz .LBB23_40
; %bb.31:                               ;   in Loop: Header=BB23_28 Depth=1
	v_bfe_u32 v6, v6, 23, 8
	v_sub_u32_e64 v7, s25, v6 clamp
	v_cmp_eq_u32_e32 vcc, 0, v6
	v_cndmask_b32_e32 v21, v7, v13, vcc
	v_add_u32_e32 v20, 0xffffff88, v6
	v_add_u32_e32 v6, 20, v21
	v_or_b32_e32 v18, 0x800000, v2
	v_lshlrev_b64 v[6:7], v6, -1
	v_cndmask_b32_e32 v2, v18, v2, vcc
	v_not_b32_e32 v7, v7
	v_not_b32_e32 v6, v6
	v_add_u32_e32 v18, 19, v21
	v_and_b32_e32 v7, 0, v7
	v_and_b32_e32 v6, v2, v6
	v_lshlrev_b64 v[18:19], v18, 1
	v_cmp_eq_u64_e64 s[0:1], v[6:7], v[18:19]
	v_lshrrev_b64 v[6:7], v21, v[2:3]
	v_cndmask_b32_e32 v2, v20, v14, vcc
	v_lshrrev_b32_e32 v18, 23, v6
	v_add3_u32 v18, v2, v21, v18
	v_and_b32_e32 v2, 0x100000, v6
	v_cmp_eq_u64_e32 vcc, 0, v[2:3]
	s_and_b64 vcc, vcc, s[0:1]
	v_subbrev_co_u32_e32 v2, vcc, 0, v6, vcc
	v_and_b32_e32 v2, 0xfffff, v2
	v_add_co_u32_e32 v6, vcc, v2, v6
	v_add_u32_e32 v19, -1, v18
	v_addc_co_u32_e32 v7, vcc, 0, v7, vcc
	v_cmp_ne_u32_e32 vcc, 0, v19
                                        ; implicit-def: $vgpr2
	s_and_saveexec_b64 s[0:1], vcc
	s_xor_b64 s[0:1], exec, s[0:1]
; %bb.32:                               ;   in Loop: Header=BB23_28 Depth=1
	v_and_b32_e32 v2, 0x1000000, v6
	v_cmp_eq_u64_e32 vcc, 0, v[2:3]
	v_cndmask_b32_e32 v2, v18, v19, vcc
	v_bfe_u32 v18, v6, 24, 1
	v_lshrrev_b64 v[6:7], v18, v[6:7]
; %bb.33:                               ;   in Loop: Header=BB23_28 Depth=1
	s_andn2_saveexec_b64 s[0:1], s[0:1]
; %bb.34:                               ;   in Loop: Header=BB23_28 Depth=1
	v_bfe_u32 v2, v6, 23, 1
; %bb.35:                               ;   in Loop: Header=BB23_28 Depth=1
	s_or_b64 exec, exec, s[0:1]
	v_lshrrev_b64 v[6:7], 20, v[6:7]
	v_cmp_gt_i32_e32 vcc, 16, v2
	v_cndmask_b32_e32 v7, 0, v7, vcc
	v_cndmask_b32_e32 v6, 7, v6, vcc
	v_cmp_ne_u32_e32 vcc, 0, v2
	v_cmp_ne_u64_e64 s[0:1], 0, v[6:7]
	s_or_b64 s[0:1], vcc, s[0:1]
                                        ; implicit-def: $vgpr7
	s_and_saveexec_b64 s[28:29], s[0:1]
	s_xor_b64 s[0:1], exec, s[28:29]
; %bb.36:                               ;   in Loop: Header=BB23_28 Depth=1
	v_min_i32_e32 v2, 15, v2
	v_lshl_or_b32 v2, v2, 3, v17
	v_and_or_b32 v7, v6, 7, v2
                                        ; implicit-def: $vgpr17
; %bb.37:                               ;   in Loop: Header=BB23_28 Depth=1
	s_andn2_saveexec_b64 s[0:1], s[0:1]
; %bb.38:                               ;   in Loop: Header=BB23_28 Depth=1
	v_mov_b32_e32 v7, v17
; %bb.39:                               ;   in Loop: Header=BB23_28 Depth=1
	s_or_b64 exec, exec, s[0:1]
.LBB23_40:                              ;   in Loop: Header=BB23_28 Depth=1
	s_or_b64 exec, exec, s[18:19]
.LBB23_41:                              ;   in Loop: Header=BB23_28 Depth=1
	s_andn2_saveexec_b64 s[0:1], s[16:17]
	s_or_b64 exec, exec, s[0:1]
                                        ; implicit-def: $vgpr6
.LBB23_42:                              ;   in Loop: Header=BB23_28 Depth=1
	s_andn2_saveexec_b64 s[0:1], s[14:15]
; %bb.43:                               ;   in Loop: Header=BB23_28 Depth=1
	v_or_b32_sdwa v6, v6, s26 dst_sel:DWORD dst_unused:UNUSED_PAD src0_sel:BYTE_3 src1_sel:DWORD
	v_cmp_eq_u64_e32 vcc, 0, v[2:3]
	v_cndmask_b32_e32 v7, v6, v7, vcc
; %bb.44:                               ;   in Loop: Header=BB23_28 Depth=1
	s_or_b64 exec, exec, s[0:1]
	v_and_b32_e32 v2, 0xffff0000, v15
	v_mul_f32_e32 v2, v1, v2
	global_store_byte v8, v7, s[12:13]
	v_bfe_u32 v7, v2, 16, 1
	v_add3_u32 v7, v2, v7, s3
	v_and_b32_e32 v7, 0xffff0000, v7
	v_cmp_o_f32_e32 vcc, v2, v2
	v_and_b32_e32 v6, 0xffff0000, v16
	v_cndmask_b32_e32 v2, v12, v7, vcc
	v_mul_f32_e32 v2, v2, v6
	v_bfe_u32 v6, v2, 16, 1
	v_add3_u32 v6, v2, v6, s3
	v_and_b32_e32 v6, 0xffff0000, v6
	v_cmp_o_f32_e32 vcc, v2, v2
	v_cndmask_b32_e32 v2, v12, v6, vcc
	v_mul_f32_e32 v2, v9, v2
	v_min_f32_e32 v2, 0x43e00000, v2
	v_max_f32_e32 v6, 0xc3e00000, v2
	v_and_b32_sdwa v15, v6, s9 dst_sel:DWORD dst_unused:UNUSED_PAD src0_sel:BYTE_3 src1_sel:DWORD
	v_and_b32_e32 v16, 0x7f800000, v6
	v_mov_b32_e32 v17, v3
	v_and_b32_e32 v2, 0x7fffff, v6
	v_or_b32_e32 v7, 0x7e, v15
	v_cmp_ne_u64_e32 vcc, s[6:7], v[16:17]
	s_and_saveexec_b64 s[0:1], vcc
	s_xor_b64 s[14:15], exec, s[0:1]
	s_cbranch_execz .LBB23_58
; %bb.45:                               ;   in Loop: Header=BB23_28 Depth=1
	v_and_b32_e32 v16, 0x7fffffff, v6
	v_mov_b32_e32 v17, v3
	v_cmp_gt_u64_e32 vcc, s[10:11], v[16:17]
	s_and_saveexec_b64 s[0:1], vcc
	s_xor_b64 s[16:17], exec, s[0:1]
	s_cbranch_execz .LBB23_57
; %bb.46:                               ;   in Loop: Header=BB23_28 Depth=1
	v_cmp_ne_u32_e32 vcc, 0, v6
	v_mov_b32_e32 v7, 0
	s_and_saveexec_b64 s[18:19], vcc
	s_cbranch_execz .LBB23_56
; %bb.47:                               ;   in Loop: Header=BB23_28 Depth=1
	v_bfe_u32 v6, v6, 23, 8
	v_sub_u32_e64 v7, s25, v6 clamp
	v_cmp_eq_u32_e32 vcc, 0, v6
	v_cndmask_b32_e32 v19, v7, v13, vcc
	v_add_u32_e32 v18, 0xffffff88, v6
	v_add_u32_e32 v6, 20, v19
	v_or_b32_e32 v16, 0x800000, v2
	v_lshlrev_b64 v[6:7], v6, -1
	v_cndmask_b32_e32 v2, v16, v2, vcc
	v_not_b32_e32 v7, v7
	v_not_b32_e32 v6, v6
	v_add_u32_e32 v16, 19, v19
	v_and_b32_e32 v7, 0, v7
	v_and_b32_e32 v6, v2, v6
	v_lshlrev_b64 v[16:17], v16, 1
	v_cmp_eq_u64_e64 s[0:1], v[6:7], v[16:17]
	v_lshrrev_b64 v[6:7], v19, v[2:3]
	v_cndmask_b32_e32 v2, v18, v14, vcc
	v_lshrrev_b32_e32 v16, 23, v6
	v_add3_u32 v16, v2, v19, v16
	v_and_b32_e32 v2, 0x100000, v6
	v_cmp_eq_u64_e32 vcc, 0, v[2:3]
	s_and_b64 vcc, vcc, s[0:1]
	v_subbrev_co_u32_e32 v2, vcc, 0, v6, vcc
	v_and_b32_e32 v2, 0xfffff, v2
	v_add_co_u32_e32 v6, vcc, v2, v6
	v_add_u32_e32 v17, -1, v16
	v_addc_co_u32_e32 v7, vcc, 0, v7, vcc
	v_cmp_ne_u32_e32 vcc, 0, v17
                                        ; implicit-def: $vgpr2
	s_and_saveexec_b64 s[0:1], vcc
	s_xor_b64 s[0:1], exec, s[0:1]
; %bb.48:                               ;   in Loop: Header=BB23_28 Depth=1
	v_and_b32_e32 v2, 0x1000000, v6
	v_cmp_eq_u64_e32 vcc, 0, v[2:3]
	v_cndmask_b32_e32 v2, v16, v17, vcc
	v_bfe_u32 v16, v6, 24, 1
	v_lshrrev_b64 v[6:7], v16, v[6:7]
; %bb.49:                               ;   in Loop: Header=BB23_28 Depth=1
	s_andn2_saveexec_b64 s[0:1], s[0:1]
; %bb.50:                               ;   in Loop: Header=BB23_28 Depth=1
	v_bfe_u32 v2, v6, 23, 1
; %bb.51:                               ;   in Loop: Header=BB23_28 Depth=1
	s_or_b64 exec, exec, s[0:1]
	v_lshrrev_b64 v[6:7], 20, v[6:7]
	v_cmp_gt_i32_e32 vcc, 16, v2
	v_cndmask_b32_e32 v7, 0, v7, vcc
	v_cndmask_b32_e32 v6, 7, v6, vcc
	v_cmp_ne_u32_e32 vcc, 0, v2
	v_cmp_ne_u64_e64 s[0:1], 0, v[6:7]
	s_or_b64 s[0:1], vcc, s[0:1]
                                        ; implicit-def: $vgpr7
	s_and_saveexec_b64 s[28:29], s[0:1]
	s_xor_b64 s[0:1], exec, s[28:29]
; %bb.52:                               ;   in Loop: Header=BB23_28 Depth=1
	v_min_i32_e32 v2, 15, v2
	v_lshl_or_b32 v2, v2, 3, v15
	v_and_or_b32 v7, v6, 7, v2
                                        ; implicit-def: $vgpr15
; %bb.53:                               ;   in Loop: Header=BB23_28 Depth=1
	s_andn2_saveexec_b64 s[0:1], s[0:1]
; %bb.54:                               ;   in Loop: Header=BB23_28 Depth=1
	v_mov_b32_e32 v7, v15
; %bb.55:                               ;   in Loop: Header=BB23_28 Depth=1
	s_or_b64 exec, exec, s[0:1]
.LBB23_56:                              ;   in Loop: Header=BB23_28 Depth=1
	s_or_b64 exec, exec, s[18:19]
.LBB23_57:                              ;   in Loop: Header=BB23_28 Depth=1
	s_andn2_saveexec_b64 s[0:1], s[16:17]
	s_or_b64 exec, exec, s[0:1]
                                        ; implicit-def: $vgpr6
.LBB23_58:                              ;   in Loop: Header=BB23_28 Depth=1
	s_andn2_saveexec_b64 s[0:1], s[14:15]
	s_cbranch_execz .LBB23_27
; %bb.59:                               ;   in Loop: Header=BB23_28 Depth=1
	v_or_b32_sdwa v6, v6, s26 dst_sel:DWORD dst_unused:UNUSED_PAD src0_sel:BYTE_3 src1_sel:DWORD
	v_cmp_eq_u64_e32 vcc, 0, v[2:3]
	v_cndmask_b32_e32 v7, v6, v7, vcc
	s_branch .LBB23_27
.LBB23_60:
	s_endpgm
	.section	.rodata,"a",@progbits
	.p2align	6, 0x0
	.amdhsa_kernel _ZN4vllm32rms_norm_static_fp8_quant_kernelIN3c108BFloat16ENS1_13Float8_e4m3fnELi2EEEvPT0_PKT_iS8_PKffii
		.amdhsa_group_segment_fixed_size 68
		.amdhsa_private_segment_fixed_size 0
		.amdhsa_kernarg_size 312
		.amdhsa_user_sgpr_count 6
		.amdhsa_user_sgpr_private_segment_buffer 1
		.amdhsa_user_sgpr_dispatch_ptr 0
		.amdhsa_user_sgpr_queue_ptr 0
		.amdhsa_user_sgpr_kernarg_segment_ptr 1
		.amdhsa_user_sgpr_dispatch_id 0
		.amdhsa_user_sgpr_flat_scratch_init 0
		.amdhsa_user_sgpr_kernarg_preload_length 0
		.amdhsa_user_sgpr_kernarg_preload_offset 0
		.amdhsa_user_sgpr_private_segment_size 0
		.amdhsa_uses_dynamic_stack 0
		.amdhsa_system_sgpr_private_segment_wavefront_offset 0
		.amdhsa_system_sgpr_workgroup_id_x 1
		.amdhsa_system_sgpr_workgroup_id_y 0
		.amdhsa_system_sgpr_workgroup_id_z 0
		.amdhsa_system_sgpr_workgroup_info 0
		.amdhsa_system_vgpr_workitem_id 0
		.amdhsa_next_free_vgpr 22
		.amdhsa_next_free_sgpr 30
		.amdhsa_accum_offset 24
		.amdhsa_reserve_vcc 1
		.amdhsa_reserve_flat_scratch 0
		.amdhsa_float_round_mode_32 0
		.amdhsa_float_round_mode_16_64 0
		.amdhsa_float_denorm_mode_32 3
		.amdhsa_float_denorm_mode_16_64 3
		.amdhsa_dx10_clamp 1
		.amdhsa_ieee_mode 1
		.amdhsa_fp16_overflow 0
		.amdhsa_tg_split 0
		.amdhsa_exception_fp_ieee_invalid_op 0
		.amdhsa_exception_fp_denorm_src 0
		.amdhsa_exception_fp_ieee_div_zero 0
		.amdhsa_exception_fp_ieee_overflow 0
		.amdhsa_exception_fp_ieee_underflow 0
		.amdhsa_exception_fp_ieee_inexact 0
		.amdhsa_exception_int_div_zero 0
	.end_amdhsa_kernel
	.section	.text._ZN4vllm32rms_norm_static_fp8_quant_kernelIN3c108BFloat16ENS1_13Float8_e4m3fnELi2EEEvPT0_PKT_iS8_PKffii,"axG",@progbits,_ZN4vllm32rms_norm_static_fp8_quant_kernelIN3c108BFloat16ENS1_13Float8_e4m3fnELi2EEEvPT0_PKT_iS8_PKffii,comdat
.Lfunc_end23:
	.size	_ZN4vllm32rms_norm_static_fp8_quant_kernelIN3c108BFloat16ENS1_13Float8_e4m3fnELi2EEEvPT0_PKT_iS8_PKffii, .Lfunc_end23-_ZN4vllm32rms_norm_static_fp8_quant_kernelIN3c108BFloat16ENS1_13Float8_e4m3fnELi2EEEvPT0_PKT_iS8_PKffii
                                        ; -- End function
	.section	.AMDGPU.csdata,"",@progbits
; Kernel info:
; codeLenInByte = 2880
; NumSgprs: 34
; NumVgprs: 22
; NumAgprs: 0
; TotalNumVgprs: 22
; ScratchSize: 0
; MemoryBound: 0
; FloatMode: 240
; IeeeMode: 1
; LDSByteSize: 68 bytes/workgroup (compile time only)
; SGPRBlocks: 4
; VGPRBlocks: 2
; NumSGPRsForWavesPerEU: 34
; NumVGPRsForWavesPerEU: 22
; AccumOffset: 24
; Occupancy: 8
; WaveLimiterHint : 0
; COMPUTE_PGM_RSRC2:SCRATCH_EN: 0
; COMPUTE_PGM_RSRC2:USER_SGPR: 6
; COMPUTE_PGM_RSRC2:TRAP_HANDLER: 0
; COMPUTE_PGM_RSRC2:TGID_X_EN: 1
; COMPUTE_PGM_RSRC2:TGID_Y_EN: 0
; COMPUTE_PGM_RSRC2:TGID_Z_EN: 0
; COMPUTE_PGM_RSRC2:TIDIG_COMP_CNT: 0
; COMPUTE_PGM_RSRC3_GFX90A:ACCUM_OFFSET: 5
; COMPUTE_PGM_RSRC3_GFX90A:TG_SPLIT: 0
	.section	.text._ZN4vllm32rms_norm_static_fp8_quant_kernelIN3c108BFloat16ENS1_13Float8_e4m3fnELi1EEEvPT0_PKT_iS8_PKffii,"axG",@progbits,_ZN4vllm32rms_norm_static_fp8_quant_kernelIN3c108BFloat16ENS1_13Float8_e4m3fnELi1EEEvPT0_PKT_iS8_PKffii,comdat
	.protected	_ZN4vllm32rms_norm_static_fp8_quant_kernelIN3c108BFloat16ENS1_13Float8_e4m3fnELi1EEEvPT0_PKT_iS8_PKffii ; -- Begin function _ZN4vllm32rms_norm_static_fp8_quant_kernelIN3c108BFloat16ENS1_13Float8_e4m3fnELi1EEEvPT0_PKT_iS8_PKffii
	.globl	_ZN4vllm32rms_norm_static_fp8_quant_kernelIN3c108BFloat16ENS1_13Float8_e4m3fnELi1EEEvPT0_PKT_iS8_PKffii
	.p2align	8
	.type	_ZN4vllm32rms_norm_static_fp8_quant_kernelIN3c108BFloat16ENS1_13Float8_e4m3fnELi1EEEvPT0_PKT_iS8_PKffii,@function
_ZN4vllm32rms_norm_static_fp8_quant_kernelIN3c108BFloat16ENS1_13Float8_e4m3fnELi1EEEvPT0_PKT_iS8_PKffii: ; @_ZN4vllm32rms_norm_static_fp8_quant_kernelIN3c108BFloat16ENS1_13Float8_e4m3fnELi1EEEvPT0_PKT_iS8_PKffii
; %bb.0:
	s_load_dword s0, s[4:5], 0x10
	s_load_dwordx2 s[2:3], s[4:5], 0x8
	s_load_dword s18, s[4:5], 0x30
	s_load_dword s10, s[4:5], 0x44
	s_mov_b32 s1, 0
	s_waitcnt lgkmcnt(0)
	s_mul_i32 s0, s6, s0
	s_lshl_b64 s[8:9], s[0:1], 1
	s_add_u32 s19, s2, s8
	s_addc_u32 s7, s3, s9
	s_and_b32 s20, s10, 0xffff
	s_bitcmp1_b32 s19, 0
	s_cselect_b64 s[0:1], -1, 0
	s_and_b64 vcc, exec, s[0:1]
	s_cbranch_vccz .LBB24_6
; %bb.1:
	s_min_i32 s10, s18, 0
	s_sub_i32 s12, s18, s10
	v_cmp_gt_i32_e32 vcc, s12, v0
	v_mov_b32_e32 v4, 0
	s_and_saveexec_b64 s[0:1], vcc
	s_cbranch_execz .LBB24_5
; %bb.2:
	s_ashr_i32 s11, s10, 31
	s_lshl_b64 s[10:11], s[10:11], 1
	s_add_u32 s13, s2, s8
	s_addc_u32 s15, s3, s9
	s_add_u32 s10, s13, s10
	v_lshlrev_b32_e32 v1, 1, v0
	s_addc_u32 s11, s15, s11
	s_mov_b32 s14, 0
	v_mov_b32_e32 v3, s11
	v_add_co_u32_e32 v2, vcc, s10, v1
	v_addc_co_u32_e32 v3, vcc, 0, v3, vcc
	s_lshl_b32 s13, s20, 1
	s_mov_b64 s[10:11], 0
	v_mov_b32_e32 v4, 0
	v_mov_b32_e32 v1, s14
	v_mov_b32_e32 v5, v0
.LBB24_3:                               ; =>This Inner Loop Header: Depth=1
	global_load_ushort v6, v[2:3], off
	v_add_co_u32_e32 v2, vcc, s13, v2
	v_add_u32_e32 v5, s20, v5
	v_addc_co_u32_e32 v3, vcc, v3, v1, vcc
	v_cmp_le_i32_e32 vcc, s12, v5
	s_or_b64 s[10:11], vcc, s[10:11]
	s_waitcnt vmcnt(0)
	v_lshlrev_b32_e32 v6, 16, v6
	v_fmac_f32_e32 v4, v6, v6
	s_andn2_b64 exec, exec, s[10:11]
	s_cbranch_execnz .LBB24_3
; %bb.4:
	s_or_b64 exec, exec, s[10:11]
.LBB24_5:
	s_or_b64 exec, exec, s[0:1]
	v_cmp_gt_i32_e64 s[0:1], s18, v0
	s_cbranch_execz .LBB24_7
	s_branch .LBB24_12
.LBB24_6:
                                        ; implicit-def: $vgpr4
	v_cmp_gt_i32_e64 s[0:1], s18, v0
.LBB24_7:
	v_mov_b32_e32 v4, 0
	s_and_saveexec_b64 s[10:11], s[0:1]
	s_cbranch_execz .LBB24_11
; %bb.8:
	s_add_u32 s0, s2, s8
	v_lshlrev_b32_e32 v1, 1, v0
	s_addc_u32 s1, s3, s9
	s_mov_b32 s12, 0
	v_mov_b32_e32 v3, s1
	v_add_co_u32_e32 v2, vcc, s0, v1
	v_addc_co_u32_e32 v3, vcc, 0, v3, vcc
	s_lshl_b32 s2, s20, 1
	s_mov_b64 s[0:1], 0
	v_mov_b32_e32 v4, 0
	v_mov_b32_e32 v1, s12
	;; [unrolled: 1-line block ×3, first 2 shown]
.LBB24_9:                               ; =>This Inner Loop Header: Depth=1
	global_load_ushort v6, v[2:3], off
	v_add_co_u32_e32 v2, vcc, s2, v2
	v_add_u32_e32 v5, s20, v5
	v_addc_co_u32_e32 v3, vcc, v3, v1, vcc
	v_cmp_le_i32_e32 vcc, s18, v5
	s_or_b64 s[0:1], vcc, s[0:1]
	s_waitcnt vmcnt(0)
	v_lshlrev_b32_e32 v6, 16, v6
	v_fmac_f32_e32 v4, v6, v6
	s_andn2_b64 exec, exec, s[0:1]
	s_cbranch_execnz .LBB24_9
; %bb.10:
	s_or_b64 exec, exec, s[0:1]
.LBB24_11:
	s_or_b64 exec, exec, s[10:11]
.LBB24_12:
	v_mbcnt_lo_u32_b32 v1, -1, 0
	v_mbcnt_hi_u32_b32 v1, -1, v1
	v_and_b32_e32 v2, 63, v1
	v_cmp_ne_u32_e32 vcc, 63, v2
	v_addc_co_u32_e32 v3, vcc, 0, v1, vcc
	v_lshlrev_b32_e32 v3, 2, v3
	ds_bpermute_b32 v3, v3, v4
	v_and_b32_e32 v5, 0x3c0, v0
	v_sub_u32_e64 v5, s20, v5 clamp
	v_add_u32_e32 v6, 1, v1
	v_cmp_lt_u32_e32 vcc, v6, v5
	s_waitcnt lgkmcnt(0)
	v_add_f32_e32 v3, v4, v3
	v_cndmask_b32_e32 v3, v4, v3, vcc
	v_cmp_gt_u32_e32 vcc, 62, v2
	v_cndmask_b32_e64 v4, 0, 1, vcc
	v_lshlrev_b32_e32 v4, 1, v4
	v_add_lshl_u32 v4, v4, v1, 2
	ds_bpermute_b32 v4, v4, v3
	v_add_u32_e32 v6, 2, v1
	v_cmp_lt_u32_e32 vcc, v6, v5
	v_add_u32_e32 v6, 4, v1
	s_waitcnt lgkmcnt(0)
	v_add_f32_e32 v4, v3, v4
	v_cndmask_b32_e32 v3, v3, v4, vcc
	v_cmp_gt_u32_e32 vcc, 60, v2
	v_cndmask_b32_e64 v4, 0, 1, vcc
	v_lshlrev_b32_e32 v4, 2, v4
	v_add_lshl_u32 v4, v4, v1, 2
	ds_bpermute_b32 v4, v4, v3
	v_cmp_lt_u32_e32 vcc, v6, v5
	v_add_u32_e32 v6, 8, v1
	s_waitcnt lgkmcnt(0)
	v_add_f32_e32 v4, v3, v4
	v_cndmask_b32_e32 v3, v3, v4, vcc
	v_cmp_gt_u32_e32 vcc, 56, v2
	v_cndmask_b32_e64 v4, 0, 1, vcc
	v_lshlrev_b32_e32 v4, 3, v4
	v_add_lshl_u32 v4, v4, v1, 2
	ds_bpermute_b32 v4, v4, v3
	;; [unrolled: 10-line block ×3, first 2 shown]
	v_cmp_lt_u32_e32 vcc, v6, v5
	s_waitcnt lgkmcnt(0)
	v_add_f32_e32 v4, v3, v4
	v_cndmask_b32_e32 v3, v3, v4, vcc
	v_cmp_gt_u32_e32 vcc, 32, v2
	v_cndmask_b32_e64 v2, 0, 1, vcc
	v_lshlrev_b32_e32 v2, 5, v2
	v_add_lshl_u32 v2, v2, v1, 2
	ds_bpermute_b32 v2, v2, v3
	v_add_u32_e32 v4, 32, v1
	v_cmp_lt_u32_e32 vcc, v4, v5
	s_waitcnt lgkmcnt(0)
	v_add_f32_e32 v2, v3, v2
	v_cndmask_b32_e32 v2, v3, v2, vcc
	v_cmp_eq_u32_e32 vcc, 0, v1
	s_and_saveexec_b64 s[0:1], vcc
	s_cbranch_execz .LBB24_14
; %bb.13:
	v_lshrrev_b32_e32 v3, 4, v0
	v_and_b32_e32 v3, 60, v3
	ds_write_b32 v3, v2
.LBB24_14:
	s_or_b64 exec, exec, s[0:1]
	v_cmp_gt_u32_e32 vcc, 16, v0
	s_waitcnt lgkmcnt(0)
	s_barrier
	s_and_saveexec_b64 s[2:3], vcc
	s_cbranch_execz .LBB24_16
; %bb.15:
	v_lshlrev_b32_e32 v2, 2, v1
	ds_read_b32 v2, v2
	v_and_b32_e32 v3, 15, v1
	v_cmp_ne_u32_e32 vcc, 15, v3
	v_addc_co_u32_e32 v4, vcc, 0, v1, vcc
	v_lshlrev_b32_e32 v4, 2, v4
	s_waitcnt lgkmcnt(0)
	ds_bpermute_b32 v4, v4, v2
	s_add_i32 s0, s20, 63
	s_lshr_b32 s8, s0, 6
	v_add_u32_e32 v5, 1, v3
	v_cmp_gt_u32_e64 s[0:1], 14, v3
	v_cmp_gt_u32_e32 vcc, s8, v5
	v_cndmask_b32_e64 v5, 0, 1, s[0:1]
	s_waitcnt lgkmcnt(0)
	v_add_f32_e32 v4, v2, v4
	v_lshlrev_b32_e32 v5, 1, v5
	v_cndmask_b32_e32 v4, v2, v4, vcc
	v_add_lshl_u32 v5, v5, v1, 2
	ds_bpermute_b32 v5, v5, v4
	v_add_u32_e32 v6, 2, v3
	v_cmp_gt_u32_e64 s[0:1], s8, v6
	v_add_u32_e32 v6, 4, v3
	s_waitcnt lgkmcnt(0)
	v_add_f32_e32 v5, v4, v5
	v_cndmask_b32_e64 v4, v4, v5, s[0:1]
	v_cmp_gt_u32_e64 s[0:1], 12, v3
	v_cndmask_b32_e64 v5, 0, 1, s[0:1]
	v_lshlrev_b32_e32 v5, 2, v5
	v_add_lshl_u32 v5, v5, v1, 2
	ds_bpermute_b32 v5, v5, v4
	v_cmp_gt_u32_e64 s[0:1], s8, v6
	s_waitcnt lgkmcnt(0)
	v_add_f32_e32 v5, v4, v5
	v_cndmask_b32_e64 v4, v4, v5, s[0:1]
	v_cmp_gt_u32_e64 s[0:1], 8, v3
	v_cndmask_b32_e64 v5, 0, 1, s[0:1]
	v_lshlrev_b32_e32 v5, 3, v5
	v_add_lshl_u32 v1, v5, v1, 2
	ds_bpermute_b32 v1, v1, v4
	v_add_u32_e32 v3, 8, v3
	v_cmp_gt_u32_e64 s[0:1], s8, v3
	s_waitcnt lgkmcnt(0)
	v_add_f32_e32 v1, v4, v1
	v_cndmask_b32_e64 v1, v4, v1, s[0:1]
	v_cndmask_b32_e32 v2, v2, v1, vcc
.LBB24_16:
	s_or_b64 exec, exec, s[2:3]
	v_cmp_eq_u32_e32 vcc, 0, v0
	s_and_saveexec_b64 s[0:1], vcc
	s_cbranch_execz .LBB24_18
; %bb.17:
	v_cvt_f32_i32_e32 v1, s18
	s_load_dword s8, s[4:5], 0x28
	v_div_scale_f32 v3, s[2:3], v1, v1, v2
	v_rcp_f32_e32 v4, v3
	v_div_scale_f32 v5, vcc, v2, v1, v2
	s_mov_b32 s2, 0x800000
	v_fma_f32 v6, -v3, v4, 1.0
	v_fmac_f32_e32 v4, v6, v4
	v_mul_f32_e32 v6, v5, v4
	v_fma_f32 v7, -v3, v6, v5
	v_fmac_f32_e32 v6, v7, v4
	v_fma_f32 v3, -v3, v6, v5
	v_div_fmas_f32 v3, v3, v4, v6
	v_div_fixup_f32 v1, v3, v1, v2
	s_waitcnt lgkmcnt(0)
	v_add_f32_e32 v1, s8, v1
	v_mul_f32_e32 v2, 0x4b800000, v1
	v_cmp_gt_f32_e32 vcc, s2, v1
	v_cndmask_b32_e32 v1, v1, v2, vcc
	v_rsq_f32_e32 v1, v1
	v_mul_f32_e32 v2, 0x45800000, v1
	v_cndmask_b32_e32 v1, v1, v2, vcc
	v_mov_b32_e32 v2, 0
	ds_write_b32 v2, v1 offset:64
.LBB24_18:
	s_or_b64 exec, exec, s[0:1]
	v_cmp_gt_i32_e32 vcc, s18, v0
	s_waitcnt lgkmcnt(0)
	s_barrier
	s_and_saveexec_b64 s[0:1], vcc
	s_cbranch_execz .LBB24_37
; %bb.19:
	s_load_dwordx4 s[8:11], s[4:5], 0x18
	s_load_dwordx2 s[2:3], s[4:5], 0x0
	s_mul_i32 s21, s6, s18
	v_mov_b32_e32 v3, 0
	ds_read_b32 v7, v3 offset:64
	s_waitcnt lgkmcnt(0)
	s_load_dword s6, s[10:11], 0x0
	s_mov_b64 s[4:5], 0
	v_mov_b32_e32 v6, s7
	v_mov_b32_e32 v8, s9
	s_movk_i32 s9, 0x7fff
	s_waitcnt lgkmcnt(0)
	v_div_scale_f32 v1, s[0:1], s6, s6, 1.0
	v_rcp_f32_e32 v2, v1
	v_div_scale_f32 v4, vcc, 1.0, s6, 1.0
	v_mov_b32_e32 v10, 0x7fc00000
	v_fma_f32 v5, -v1, v2, 1.0
	v_fmac_f32_e32 v2, v5, v2
	v_mul_f32_e32 v5, v4, v2
	v_fma_f32 v9, -v1, v5, v4
	v_fmac_f32_e32 v5, v9, v2
	v_fma_f32 v1, -v1, v5, v4
	v_div_fmas_f32 v1, v1, v2, v5
	v_div_fixup_f32 v9, v1, s6, 1.0
	s_movk_i32 s22, 0x80
	s_mov_b64 s[6:7], 0x7f800000
	s_mov_b64 s[10:11], 0x43e00001
	s_movk_i32 s23, 0x79
	s_movk_i32 s24, 0x7f
	v_mov_b32_e32 v11, 0x78
	v_mov_b32_e32 v12, 0xffffff89
	s_branch .LBB24_21
.LBB24_20:                              ;   in Loop: Header=BB24_21 Depth=1
	s_or_b64 exec, exec, s[0:1]
	v_add_u32_e32 v1, s21, v0
	v_add_u32_e32 v0, s20, v0
	v_cmp_le_i32_e32 vcc, s18, v0
	s_or_b64 s[4:5], vcc, s[4:5]
	global_store_byte v1, v5, s[2:3]
	s_andn2_b64 exec, exec, s[4:5]
	s_cbranch_execz .LBB24_37
.LBB24_21:                              ; =>This Inner Loop Header: Depth=1
	v_ashrrev_i32_e32 v1, 31, v0
	v_lshlrev_b64 v[4:5], 1, v[0:1]
	v_add_co_u32_e32 v14, vcc, s19, v4
	v_addc_co_u32_e32 v15, vcc, v6, v5, vcc
	v_add_co_u32_e32 v4, vcc, s8, v4
	v_addc_co_u32_e32 v5, vcc, v8, v5, vcc
	global_load_ushort v1, v[14:15], off
	global_load_ushort v2, v[4:5], off
	v_mov_b32_e32 v15, v3
	s_waitcnt vmcnt(1)
	v_lshlrev_b32_e32 v1, 16, v1
	v_mul_f32_e32 v1, v7, v1
	v_bfe_u32 v4, v1, 16, 1
	v_add3_u32 v4, v1, v4, s9
	v_and_b32_e32 v4, 0xffff0000, v4
	v_cmp_o_f32_e32 vcc, v1, v1
	s_waitcnt vmcnt(0)
	v_lshlrev_b32_e32 v2, 16, v2
	v_cndmask_b32_e32 v1, v10, v4, vcc
	v_mul_f32_e32 v1, v1, v2
	v_bfe_u32 v2, v1, 16, 1
	v_add3_u32 v2, v1, v2, s9
	v_and_b32_e32 v2, 0xffff0000, v2
	v_cmp_o_f32_e32 vcc, v1, v1
	v_cndmask_b32_e32 v1, v10, v2, vcc
	v_mul_f32_e32 v1, v9, v1
	v_min_f32_e32 v1, 0x43e00000, v1
	v_max_f32_e32 v4, 0xc3e00000, v1
	v_and_b32_sdwa v1, v4, s22 dst_sel:DWORD dst_unused:UNUSED_PAD src0_sel:BYTE_3 src1_sel:DWORD
	v_and_b32_e32 v14, 0x7f800000, v4
	v_and_b32_e32 v2, 0x7fffff, v4
	v_or_b32_e32 v5, 0x7e, v1
	v_cmp_ne_u64_e32 vcc, s[6:7], v[14:15]
	s_and_saveexec_b64 s[0:1], vcc
	s_xor_b64 s[12:13], exec, s[0:1]
	s_cbranch_execz .LBB24_35
; %bb.22:                               ;   in Loop: Header=BB24_21 Depth=1
	v_and_b32_e32 v14, 0x7fffffff, v4
	v_mov_b32_e32 v15, v3
	v_cmp_gt_u64_e32 vcc, s[10:11], v[14:15]
	s_and_saveexec_b64 s[0:1], vcc
	s_xor_b64 s[14:15], exec, s[0:1]
	s_cbranch_execz .LBB24_34
; %bb.23:                               ;   in Loop: Header=BB24_21 Depth=1
	v_cmp_ne_u32_e32 vcc, 0, v4
	v_mov_b32_e32 v5, 0
	s_and_saveexec_b64 s[16:17], vcc
	s_cbranch_execz .LBB24_33
; %bb.24:                               ;   in Loop: Header=BB24_21 Depth=1
	v_bfe_u32 v4, v4, 23, 8
	v_sub_u32_e64 v5, s23, v4 clamp
	v_cmp_eq_u32_e32 vcc, 0, v4
	v_cndmask_b32_e32 v17, v5, v11, vcc
	v_add_u32_e32 v16, 0xffffff88, v4
	v_add_u32_e32 v4, 20, v17
	v_or_b32_e32 v13, 0x800000, v2
	v_lshlrev_b64 v[4:5], v4, -1
	v_cndmask_b32_e32 v2, v13, v2, vcc
	v_not_b32_e32 v5, v5
	v_not_b32_e32 v4, v4
	v_add_u32_e32 v13, 19, v17
	v_and_b32_e32 v5, 0, v5
	v_and_b32_e32 v4, v2, v4
	v_lshlrev_b64 v[14:15], v13, 1
	v_cmp_eq_u64_e64 s[0:1], v[4:5], v[14:15]
	v_lshrrev_b64 v[4:5], v17, v[2:3]
	v_cndmask_b32_e32 v2, v16, v12, vcc
	v_lshrrev_b32_e32 v13, 23, v4
	v_add3_u32 v13, v2, v17, v13
	v_and_b32_e32 v2, 0x100000, v4
	v_cmp_eq_u64_e32 vcc, 0, v[2:3]
	s_and_b64 vcc, vcc, s[0:1]
	v_subbrev_co_u32_e32 v2, vcc, 0, v4, vcc
	v_and_b32_e32 v2, 0xfffff, v2
	v_add_co_u32_e32 v4, vcc, v2, v4
	v_add_u32_e32 v14, -1, v13
	v_addc_co_u32_e32 v5, vcc, 0, v5, vcc
	v_cmp_ne_u32_e32 vcc, 0, v14
                                        ; implicit-def: $vgpr2
	s_and_saveexec_b64 s[0:1], vcc
	s_xor_b64 s[0:1], exec, s[0:1]
; %bb.25:                               ;   in Loop: Header=BB24_21 Depth=1
	v_and_b32_e32 v2, 0x1000000, v4
	v_cmp_eq_u64_e32 vcc, 0, v[2:3]
	v_cndmask_b32_e32 v2, v13, v14, vcc
	v_bfe_u32 v13, v4, 24, 1
	v_lshrrev_b64 v[4:5], v13, v[4:5]
; %bb.26:                               ;   in Loop: Header=BB24_21 Depth=1
	s_andn2_saveexec_b64 s[0:1], s[0:1]
; %bb.27:                               ;   in Loop: Header=BB24_21 Depth=1
	v_bfe_u32 v2, v4, 23, 1
; %bb.28:                               ;   in Loop: Header=BB24_21 Depth=1
	s_or_b64 exec, exec, s[0:1]
	v_lshrrev_b64 v[4:5], 20, v[4:5]
	v_cmp_gt_i32_e32 vcc, 16, v2
	v_cndmask_b32_e32 v5, 0, v5, vcc
	v_cndmask_b32_e32 v4, 7, v4, vcc
	v_cmp_ne_u32_e32 vcc, 0, v2
	v_cmp_ne_u64_e64 s[0:1], 0, v[4:5]
	s_or_b64 s[0:1], vcc, s[0:1]
                                        ; implicit-def: $vgpr5
	s_and_saveexec_b64 s[26:27], s[0:1]
	s_xor_b64 s[0:1], exec, s[26:27]
; %bb.29:                               ;   in Loop: Header=BB24_21 Depth=1
	v_min_i32_e32 v2, 15, v2
	v_lshl_or_b32 v1, v2, 3, v1
	v_and_or_b32 v5, v4, 7, v1
                                        ; implicit-def: $vgpr1
; %bb.30:                               ;   in Loop: Header=BB24_21 Depth=1
	s_andn2_saveexec_b64 s[0:1], s[0:1]
; %bb.31:                               ;   in Loop: Header=BB24_21 Depth=1
	v_mov_b32_e32 v5, v1
; %bb.32:                               ;   in Loop: Header=BB24_21 Depth=1
	s_or_b64 exec, exec, s[0:1]
.LBB24_33:                              ;   in Loop: Header=BB24_21 Depth=1
	s_or_b64 exec, exec, s[16:17]
.LBB24_34:                              ;   in Loop: Header=BB24_21 Depth=1
	s_andn2_saveexec_b64 s[0:1], s[14:15]
	s_or_b64 exec, exec, s[0:1]
                                        ; implicit-def: $vgpr4
.LBB24_35:                              ;   in Loop: Header=BB24_21 Depth=1
	s_andn2_saveexec_b64 s[0:1], s[12:13]
	s_cbranch_execz .LBB24_20
; %bb.36:                               ;   in Loop: Header=BB24_21 Depth=1
	v_or_b32_sdwa v1, v4, s24 dst_sel:DWORD dst_unused:UNUSED_PAD src0_sel:BYTE_3 src1_sel:DWORD
	v_cmp_eq_u64_e32 vcc, 0, v[2:3]
	v_cndmask_b32_e32 v5, v1, v5, vcc
	s_branch .LBB24_20
.LBB24_37:
	s_endpgm
	.section	.rodata,"a",@progbits
	.p2align	6, 0x0
	.amdhsa_kernel _ZN4vllm32rms_norm_static_fp8_quant_kernelIN3c108BFloat16ENS1_13Float8_e4m3fnELi1EEEvPT0_PKT_iS8_PKffii
		.amdhsa_group_segment_fixed_size 68
		.amdhsa_private_segment_fixed_size 0
		.amdhsa_kernarg_size 312
		.amdhsa_user_sgpr_count 6
		.amdhsa_user_sgpr_private_segment_buffer 1
		.amdhsa_user_sgpr_dispatch_ptr 0
		.amdhsa_user_sgpr_queue_ptr 0
		.amdhsa_user_sgpr_kernarg_segment_ptr 1
		.amdhsa_user_sgpr_dispatch_id 0
		.amdhsa_user_sgpr_flat_scratch_init 0
		.amdhsa_user_sgpr_kernarg_preload_length 0
		.amdhsa_user_sgpr_kernarg_preload_offset 0
		.amdhsa_user_sgpr_private_segment_size 0
		.amdhsa_uses_dynamic_stack 0
		.amdhsa_system_sgpr_private_segment_wavefront_offset 0
		.amdhsa_system_sgpr_workgroup_id_x 1
		.amdhsa_system_sgpr_workgroup_id_y 0
		.amdhsa_system_sgpr_workgroup_id_z 0
		.amdhsa_system_sgpr_workgroup_info 0
		.amdhsa_system_vgpr_workitem_id 0
		.amdhsa_next_free_vgpr 18
		.amdhsa_next_free_sgpr 28
		.amdhsa_accum_offset 20
		.amdhsa_reserve_vcc 1
		.amdhsa_reserve_flat_scratch 0
		.amdhsa_float_round_mode_32 0
		.amdhsa_float_round_mode_16_64 0
		.amdhsa_float_denorm_mode_32 3
		.amdhsa_float_denorm_mode_16_64 3
		.amdhsa_dx10_clamp 1
		.amdhsa_ieee_mode 1
		.amdhsa_fp16_overflow 0
		.amdhsa_tg_split 0
		.amdhsa_exception_fp_ieee_invalid_op 0
		.amdhsa_exception_fp_denorm_src 0
		.amdhsa_exception_fp_ieee_div_zero 0
		.amdhsa_exception_fp_ieee_overflow 0
		.amdhsa_exception_fp_ieee_underflow 0
		.amdhsa_exception_fp_ieee_inexact 0
		.amdhsa_exception_int_div_zero 0
	.end_amdhsa_kernel
	.section	.text._ZN4vllm32rms_norm_static_fp8_quant_kernelIN3c108BFloat16ENS1_13Float8_e4m3fnELi1EEEvPT0_PKT_iS8_PKffii,"axG",@progbits,_ZN4vllm32rms_norm_static_fp8_quant_kernelIN3c108BFloat16ENS1_13Float8_e4m3fnELi1EEEvPT0_PKT_iS8_PKffii,comdat
.Lfunc_end24:
	.size	_ZN4vllm32rms_norm_static_fp8_quant_kernelIN3c108BFloat16ENS1_13Float8_e4m3fnELi1EEEvPT0_PKT_iS8_PKffii, .Lfunc_end24-_ZN4vllm32rms_norm_static_fp8_quant_kernelIN3c108BFloat16ENS1_13Float8_e4m3fnELi1EEEvPT0_PKT_iS8_PKffii
                                        ; -- End function
	.section	.AMDGPU.csdata,"",@progbits
; Kernel info:
; codeLenInByte = 2012
; NumSgprs: 32
; NumVgprs: 18
; NumAgprs: 0
; TotalNumVgprs: 18
; ScratchSize: 0
; MemoryBound: 0
; FloatMode: 240
; IeeeMode: 1
; LDSByteSize: 68 bytes/workgroup (compile time only)
; SGPRBlocks: 3
; VGPRBlocks: 2
; NumSGPRsForWavesPerEU: 32
; NumVGPRsForWavesPerEU: 18
; AccumOffset: 20
; Occupancy: 8
; WaveLimiterHint : 0
; COMPUTE_PGM_RSRC2:SCRATCH_EN: 0
; COMPUTE_PGM_RSRC2:USER_SGPR: 6
; COMPUTE_PGM_RSRC2:TRAP_HANDLER: 0
; COMPUTE_PGM_RSRC2:TGID_X_EN: 1
; COMPUTE_PGM_RSRC2:TGID_Y_EN: 0
; COMPUTE_PGM_RSRC2:TGID_Z_EN: 0
; COMPUTE_PGM_RSRC2:TIDIG_COMP_CNT: 0
; COMPUTE_PGM_RSRC3_GFX90A:ACCUM_OFFSET: 4
; COMPUTE_PGM_RSRC3_GFX90A:TG_SPLIT: 0
	.section	.text._ZN4vllm32rms_norm_static_fp8_quant_kernelIN3c108BFloat16ENS1_15Float8_e4m3fnuzELi16EEEvPT0_PKT_iS8_PKffii,"axG",@progbits,_ZN4vllm32rms_norm_static_fp8_quant_kernelIN3c108BFloat16ENS1_15Float8_e4m3fnuzELi16EEEvPT0_PKT_iS8_PKffii,comdat
	.protected	_ZN4vllm32rms_norm_static_fp8_quant_kernelIN3c108BFloat16ENS1_15Float8_e4m3fnuzELi16EEEvPT0_PKT_iS8_PKffii ; -- Begin function _ZN4vllm32rms_norm_static_fp8_quant_kernelIN3c108BFloat16ENS1_15Float8_e4m3fnuzELi16EEEvPT0_PKT_iS8_PKffii
	.globl	_ZN4vllm32rms_norm_static_fp8_quant_kernelIN3c108BFloat16ENS1_15Float8_e4m3fnuzELi16EEEvPT0_PKT_iS8_PKffii
	.p2align	8
	.type	_ZN4vllm32rms_norm_static_fp8_quant_kernelIN3c108BFloat16ENS1_15Float8_e4m3fnuzELi16EEEvPT0_PKT_iS8_PKffii,@function
_ZN4vllm32rms_norm_static_fp8_quant_kernelIN3c108BFloat16ENS1_15Float8_e4m3fnuzELi16EEEvPT0_PKT_iS8_PKffii: ; @_ZN4vllm32rms_norm_static_fp8_quant_kernelIN3c108BFloat16ENS1_15Float8_e4m3fnuzELi16EEEvPT0_PKT_iS8_PKffii
; %bb.0:
	s_load_dword s2, s[4:5], 0x10
	s_load_dwordx2 s[0:1], s[4:5], 0x8
	s_load_dword s7, s[4:5], 0x30
	s_load_dword s10, s[4:5], 0x44
	s_mov_b32 s9, 0
	s_waitcnt lgkmcnt(0)
	s_mul_i32 s8, s6, s2
	s_lshl_b64 s[2:3], s[8:9], 1
	s_add_u32 s18, s0, s2
	s_addc_u32 s19, s1, s3
	s_and_b32 s20, s10, 0xffff
	s_and_b32 s8, s18, 31
	s_cmp_lg_u64 s[8:9], 0
	s_cselect_b64 s[8:9], -1, 0
	s_and_b32 s10, s7, 15
	s_cmp_lg_u32 s10, 0
	s_cselect_b64 s[10:11], -1, 0
	s_or_b64 s[8:9], s[8:9], s[10:11]
	s_and_b64 vcc, exec, s[8:9]
	s_cbranch_vccz .LBB25_14
; %bb.1:
	s_sub_i32 s8, 0, s18
	s_bfe_u32 s8, s8, 0x40001
	s_min_i32 s8, s8, s7
	v_cmp_gt_i32_e32 vcc, s8, v0
	v_mov_b32_e32 v1, 0
	s_and_saveexec_b64 s[10:11], vcc
	s_cbranch_execz .LBB25_5
; %bb.2:
	s_add_u32 s9, s0, s2
	v_lshlrev_b32_e32 v1, 1, v0
	s_addc_u32 s12, s1, s3
	s_mov_b32 s14, 0
	v_mov_b32_e32 v3, s12
	v_add_co_u32_e32 v2, vcc, s9, v1
	v_addc_co_u32_e32 v3, vcc, 0, v3, vcc
	s_lshl_b32 s9, s20, 1
	s_mov_b64 s[12:13], 0
	v_mov_b32_e32 v1, 0
	v_mov_b32_e32 v4, s14
	;; [unrolled: 1-line block ×3, first 2 shown]
.LBB25_3:                               ; =>This Inner Loop Header: Depth=1
	global_load_ushort v6, v[2:3], off
	v_add_co_u32_e32 v2, vcc, s9, v2
	v_add_u32_e32 v5, s20, v5
	v_addc_co_u32_e32 v3, vcc, v3, v4, vcc
	v_cmp_le_i32_e32 vcc, s8, v5
	s_or_b64 s[12:13], vcc, s[12:13]
	s_waitcnt vmcnt(0)
	v_lshlrev_b32_e32 v6, 16, v6
	v_fmac_f32_e32 v1, v6, v6
	s_andn2_b64 exec, exec, s[12:13]
	s_cbranch_execnz .LBB25_3
; %bb.4:
	s_or_b64 exec, exec, s[12:13]
.LBB25_5:
	s_or_b64 exec, exec, s[10:11]
	s_sub_i32 s14, s7, s8
	s_ashr_i32 s10, s14, 31
	s_lshr_b32 s10, s10, 28
	s_add_i32 s10, s14, s10
	s_ashr_i32 s15, s10, 4
	s_ashr_i32 s9, s8, 31
	v_cmp_gt_i32_e32 vcc, s15, v0
	s_and_saveexec_b64 s[10:11], vcc
	s_cbranch_execz .LBB25_9
; %bb.6:
	s_lshl_b64 s[12:13], s[8:9], 1
	s_add_u32 s16, s0, s2
	s_addc_u32 s21, s1, s3
	s_add_u32 s12, s16, s12
	v_lshlrev_b32_e32 v2, 5, v0
	s_addc_u32 s13, s21, s13
	s_mov_b32 s17, 0
	v_mov_b32_e32 v3, s13
	v_add_co_u32_e32 v2, vcc, s12, v2
	v_addc_co_u32_e32 v3, vcc, 0, v3, vcc
	s_lshl_b32 s16, s20, 5
	s_mov_b64 s[12:13], 0
	v_mov_b32_e32 v4, s17
	v_mov_b32_e32 v5, v0
.LBB25_7:                               ; =>This Inner Loop Header: Depth=1
	global_load_dwordx4 v[6:9], v[2:3], off
	global_load_dwordx4 v[10:13], v[2:3], off offset:16
	v_add_co_u32_e32 v2, vcc, s16, v2
	v_add_u32_e32 v5, s20, v5
	v_addc_co_u32_e32 v3, vcc, v3, v4, vcc
	v_cmp_le_i32_e32 vcc, s15, v5
	s_or_b64 s[12:13], vcc, s[12:13]
	s_waitcnt vmcnt(1)
	v_lshlrev_b32_e32 v20, 16, v6
	v_and_b32_e32 v21, 0xffff0000, v6
	v_fmac_f32_e32 v1, v20, v20
	v_lshlrev_b32_e32 v22, 16, v7
	v_fmac_f32_e32 v1, v21, v21
	v_and_b32_e32 v23, 0xffff0000, v7
	v_and_b32_e32 v7, 0xffff0000, v8
	v_lshlrev_b32_e32 v6, 16, v8
	v_fmac_f32_e32 v1, v22, v22
	v_pk_mul_f32 v[6:7], v[6:7], v[6:7]
	v_fmac_f32_e32 v1, v23, v23
	v_and_b32_e32 v15, 0xffff0000, v9
	v_lshlrev_b32_e32 v14, 16, v9
	v_add_f32_e32 v1, v1, v6
	s_waitcnt vmcnt(0)
	v_and_b32_e32 v9, 0xffff0000, v10
	v_lshlrev_b32_e32 v8, 16, v10
	v_and_b32_e32 v17, 0xffff0000, v11
	v_lshlrev_b32_e32 v16, 16, v11
	;; [unrolled: 2-line block ×4, first 2 shown]
	v_pk_mul_f32 v[12:13], v[14:15], v[14:15]
	v_add_f32_e32 v1, v1, v7
	v_add_f32_e32 v1, v1, v12
	v_pk_mul_f32 v[8:9], v[8:9], v[8:9]
	v_add_f32_e32 v1, v1, v13
	v_add_f32_e32 v1, v1, v8
	;; [unrolled: 3-line block ×5, first 2 shown]
	v_add_f32_e32 v1, v1, v17
	s_andn2_b64 exec, exec, s[12:13]
	s_cbranch_execnz .LBB25_7
; %bb.8:
	s_or_b64 exec, exec, s[12:13]
.LBB25_9:
	s_or_b64 exec, exec, s[10:11]
	v_lshl_add_u32 v2, s15, 4, v0
	v_cmp_gt_i32_e32 vcc, s14, v2
	s_and_saveexec_b64 s[10:11], vcc
	s_cbranch_execz .LBB25_13
; %bb.10:
	s_lshl_b64 s[8:9], s[8:9], 1
	s_add_u32 s12, s0, s2
	s_addc_u32 s13, s1, s3
	v_ashrrev_i32_e32 v3, 31, v2
	s_add_u32 s8, s12, s8
	v_lshlrev_b64 v[4:5], 1, v[2:3]
	s_addc_u32 s9, s13, s9
	v_mov_b32_e32 v3, s9
	v_add_co_u32_e32 v4, vcc, s8, v4
	s_mov_b32 s13, 0
	v_addc_co_u32_e32 v5, vcc, v3, v5, vcc
	s_lshl_b32 s12, s20, 1
	s_mov_b64 s[8:9], 0
	v_mov_b32_e32 v3, s13
.LBB25_11:                              ; =>This Inner Loop Header: Depth=1
	global_load_ushort v6, v[4:5], off
	v_add_co_u32_e32 v4, vcc, s12, v4
	v_add_u32_e32 v2, s20, v2
	v_addc_co_u32_e32 v5, vcc, v5, v3, vcc
	v_cmp_le_i32_e32 vcc, s14, v2
	s_or_b64 s[8:9], vcc, s[8:9]
	s_waitcnt vmcnt(0)
	v_lshlrev_b32_e32 v6, 16, v6
	v_fmac_f32_e32 v1, v6, v6
	s_andn2_b64 exec, exec, s[8:9]
	s_cbranch_execnz .LBB25_11
; %bb.12:
	s_or_b64 exec, exec, s[8:9]
.LBB25_13:
	s_or_b64 exec, exec, s[10:11]
	s_branch .LBB25_20
.LBB25_14:
                                        ; implicit-def: $vgpr1
	s_cbranch_execz .LBB25_20
; %bb.15:
	s_ashr_i32 s10, s7, 4
	v_cmp_gt_i32_e32 vcc, s10, v0
	v_mov_b32_e32 v1, 0
	s_and_saveexec_b64 s[8:9], vcc
	s_cbranch_execz .LBB25_19
; %bb.16:
	s_add_u32 s0, s0, s2
	v_lshlrev_b32_e32 v1, 5, v0
	s_addc_u32 s1, s1, s3
	s_mov_b32 s11, 0
	v_mov_b32_e32 v3, s1
	v_add_co_u32_e32 v2, vcc, s0, v1
	v_addc_co_u32_e32 v3, vcc, 0, v3, vcc
	s_lshl_b32 s2, s20, 5
	s_mov_b64 s[0:1], 0
	v_mov_b32_e32 v1, 0
	v_mov_b32_e32 v4, s11
	;; [unrolled: 1-line block ×3, first 2 shown]
.LBB25_17:                              ; =>This Inner Loop Header: Depth=1
	global_load_dwordx4 v[6:9], v[2:3], off
	global_load_dwordx4 v[10:13], v[2:3], off offset:16
	v_add_co_u32_e32 v2, vcc, s2, v2
	v_add_u32_e32 v5, s20, v5
	v_addc_co_u32_e32 v3, vcc, v3, v4, vcc
	v_cmp_le_i32_e32 vcc, s10, v5
	s_or_b64 s[0:1], vcc, s[0:1]
	s_waitcnt vmcnt(1)
	v_lshlrev_b32_e32 v20, 16, v6
	v_and_b32_e32 v21, 0xffff0000, v6
	v_fmac_f32_e32 v1, v20, v20
	v_lshlrev_b32_e32 v22, 16, v7
	v_fmac_f32_e32 v1, v21, v21
	v_and_b32_e32 v23, 0xffff0000, v7
	v_and_b32_e32 v7, 0xffff0000, v8
	v_lshlrev_b32_e32 v6, 16, v8
	v_fmac_f32_e32 v1, v22, v22
	v_pk_mul_f32 v[6:7], v[6:7], v[6:7]
	v_fmac_f32_e32 v1, v23, v23
	v_and_b32_e32 v15, 0xffff0000, v9
	v_lshlrev_b32_e32 v14, 16, v9
	v_add_f32_e32 v1, v6, v1
	s_waitcnt vmcnt(0)
	v_and_b32_e32 v9, 0xffff0000, v10
	v_lshlrev_b32_e32 v8, 16, v10
	v_and_b32_e32 v17, 0xffff0000, v11
	v_lshlrev_b32_e32 v16, 16, v11
	;; [unrolled: 2-line block ×4, first 2 shown]
	v_pk_mul_f32 v[12:13], v[14:15], v[14:15]
	v_add_f32_e32 v1, v7, v1
	v_add_f32_e32 v1, v12, v1
	v_pk_mul_f32 v[8:9], v[8:9], v[8:9]
	v_add_f32_e32 v1, v13, v1
	v_add_f32_e32 v1, v8, v1
	;; [unrolled: 3-line block ×5, first 2 shown]
	v_add_f32_e32 v1, v17, v1
	s_andn2_b64 exec, exec, s[0:1]
	s_cbranch_execnz .LBB25_17
; %bb.18:
	s_or_b64 exec, exec, s[0:1]
.LBB25_19:
	s_or_b64 exec, exec, s[8:9]
.LBB25_20:
	v_mbcnt_lo_u32_b32 v2, -1, 0
	v_mbcnt_hi_u32_b32 v2, -1, v2
	v_and_b32_e32 v3, 63, v2
	v_cmp_ne_u32_e32 vcc, 63, v3
	v_addc_co_u32_e32 v4, vcc, 0, v2, vcc
	v_lshlrev_b32_e32 v4, 2, v4
	ds_bpermute_b32 v4, v4, v1
	v_and_b32_e32 v5, 0x3c0, v0
	v_sub_u32_e64 v5, s20, v5 clamp
	v_add_u32_e32 v6, 1, v2
	v_cmp_lt_u32_e32 vcc, v6, v5
	s_waitcnt lgkmcnt(0)
	v_add_f32_e32 v4, v1, v4
	v_cndmask_b32_e32 v1, v1, v4, vcc
	v_cmp_gt_u32_e32 vcc, 62, v3
	v_cndmask_b32_e64 v4, 0, 1, vcc
	v_lshlrev_b32_e32 v4, 1, v4
	v_add_lshl_u32 v4, v4, v2, 2
	ds_bpermute_b32 v4, v4, v1
	v_add_u32_e32 v6, 2, v2
	v_cmp_lt_u32_e32 vcc, v6, v5
	v_add_u32_e32 v6, 4, v2
	s_waitcnt lgkmcnt(0)
	v_add_f32_e32 v4, v1, v4
	v_cndmask_b32_e32 v1, v1, v4, vcc
	v_cmp_gt_u32_e32 vcc, 60, v3
	v_cndmask_b32_e64 v4, 0, 1, vcc
	v_lshlrev_b32_e32 v4, 2, v4
	v_add_lshl_u32 v4, v4, v2, 2
	ds_bpermute_b32 v4, v4, v1
	v_cmp_lt_u32_e32 vcc, v6, v5
	v_add_u32_e32 v6, 8, v2
	s_waitcnt lgkmcnt(0)
	v_add_f32_e32 v4, v1, v4
	v_cndmask_b32_e32 v1, v1, v4, vcc
	v_cmp_gt_u32_e32 vcc, 56, v3
	v_cndmask_b32_e64 v4, 0, 1, vcc
	v_lshlrev_b32_e32 v4, 3, v4
	v_add_lshl_u32 v4, v4, v2, 2
	ds_bpermute_b32 v4, v4, v1
	;; [unrolled: 10-line block ×3, first 2 shown]
	v_cmp_lt_u32_e32 vcc, v6, v5
	s_waitcnt lgkmcnt(0)
	v_add_f32_e32 v4, v1, v4
	v_cndmask_b32_e32 v1, v1, v4, vcc
	v_cmp_gt_u32_e32 vcc, 32, v3
	v_cndmask_b32_e64 v3, 0, 1, vcc
	v_lshlrev_b32_e32 v3, 5, v3
	v_add_lshl_u32 v3, v3, v2, 2
	ds_bpermute_b32 v3, v3, v1
	v_add_u32_e32 v4, 32, v2
	v_cmp_lt_u32_e32 vcc, v4, v5
	s_waitcnt lgkmcnt(0)
	v_add_f32_e32 v3, v1, v3
	v_cndmask_b32_e32 v1, v1, v3, vcc
	v_cmp_eq_u32_e32 vcc, 0, v2
	s_and_saveexec_b64 s[0:1], vcc
	s_cbranch_execz .LBB25_22
; %bb.21:
	v_lshrrev_b32_e32 v3, 4, v0
	v_and_b32_e32 v3, 60, v3
	ds_write_b32 v3, v1
.LBB25_22:
	s_or_b64 exec, exec, s[0:1]
	v_cmp_gt_u32_e32 vcc, 16, v0
	s_waitcnt lgkmcnt(0)
	s_barrier
	s_and_saveexec_b64 s[2:3], vcc
	s_cbranch_execz .LBB25_24
; %bb.23:
	v_lshlrev_b32_e32 v1, 2, v2
	ds_read_b32 v1, v1
	v_and_b32_e32 v3, 15, v2
	v_cmp_ne_u32_e32 vcc, 15, v3
	v_addc_co_u32_e32 v4, vcc, 0, v2, vcc
	v_lshlrev_b32_e32 v4, 2, v4
	s_waitcnt lgkmcnt(0)
	ds_bpermute_b32 v4, v4, v1
	s_add_i32 s0, s20, 63
	s_lshr_b32 s8, s0, 6
	v_add_u32_e32 v5, 1, v3
	v_cmp_gt_u32_e64 s[0:1], 14, v3
	v_cmp_gt_u32_e32 vcc, s8, v5
	v_cndmask_b32_e64 v5, 0, 1, s[0:1]
	s_waitcnt lgkmcnt(0)
	v_add_f32_e32 v4, v1, v4
	v_lshlrev_b32_e32 v5, 1, v5
	v_cndmask_b32_e32 v4, v1, v4, vcc
	v_add_lshl_u32 v5, v5, v2, 2
	ds_bpermute_b32 v5, v5, v4
	v_add_u32_e32 v6, 2, v3
	v_cmp_gt_u32_e64 s[0:1], s8, v6
	v_add_u32_e32 v6, 4, v3
	s_waitcnt lgkmcnt(0)
	v_add_f32_e32 v5, v4, v5
	v_cndmask_b32_e64 v4, v4, v5, s[0:1]
	v_cmp_gt_u32_e64 s[0:1], 12, v3
	v_cndmask_b32_e64 v5, 0, 1, s[0:1]
	v_lshlrev_b32_e32 v5, 2, v5
	v_add_lshl_u32 v5, v5, v2, 2
	ds_bpermute_b32 v5, v5, v4
	v_cmp_gt_u32_e64 s[0:1], s8, v6
	s_waitcnt lgkmcnt(0)
	v_add_f32_e32 v5, v4, v5
	v_cndmask_b32_e64 v4, v4, v5, s[0:1]
	v_cmp_gt_u32_e64 s[0:1], 8, v3
	v_cndmask_b32_e64 v5, 0, 1, s[0:1]
	v_lshlrev_b32_e32 v5, 3, v5
	v_add_lshl_u32 v2, v5, v2, 2
	ds_bpermute_b32 v2, v2, v4
	v_add_u32_e32 v3, 8, v3
	v_cmp_gt_u32_e64 s[0:1], s8, v3
	s_waitcnt lgkmcnt(0)
	v_add_f32_e32 v2, v4, v2
	v_cndmask_b32_e64 v2, v4, v2, s[0:1]
	v_cndmask_b32_e32 v1, v1, v2, vcc
.LBB25_24:
	s_or_b64 exec, exec, s[2:3]
	v_cmp_eq_u32_e32 vcc, 0, v0
	s_and_saveexec_b64 s[0:1], vcc
	s_cbranch_execz .LBB25_26
; %bb.25:
	v_cvt_f32_i32_e32 v2, s7
	s_load_dword s8, s[4:5], 0x28
	v_div_scale_f32 v3, s[2:3], v2, v2, v1
	v_rcp_f32_e32 v4, v3
	v_div_scale_f32 v5, vcc, v1, v2, v1
	s_mov_b32 s2, 0x800000
	v_fma_f32 v6, -v3, v4, 1.0
	v_fmac_f32_e32 v4, v6, v4
	v_mul_f32_e32 v6, v5, v4
	v_fma_f32 v7, -v3, v6, v5
	v_fmac_f32_e32 v6, v7, v4
	v_fma_f32 v3, -v3, v6, v5
	v_div_fmas_f32 v3, v3, v4, v6
	v_div_fixup_f32 v1, v3, v2, v1
	s_waitcnt lgkmcnt(0)
	v_add_f32_e32 v1, s8, v1
	v_mul_f32_e32 v2, 0x4b800000, v1
	v_cmp_gt_f32_e32 vcc, s2, v1
	v_cndmask_b32_e32 v1, v1, v2, vcc
	v_rsq_f32_e32 v1, v1
	v_mul_f32_e32 v2, 0x45800000, v1
	v_cndmask_b32_e32 v1, v1, v2, vcc
	v_mov_b32_e32 v2, 0
	ds_write_b32 v2, v1 offset:64
.LBB25_26:
	s_or_b64 exec, exec, s[0:1]
	s_ashr_i32 s0, s7, 31
	s_lshr_b32 s0, s0, 28
	s_add_i32 s0, s7, s0
	s_ashr_i32 s21, s0, 4
	v_cmp_gt_i32_e32 vcc, s21, v0
	s_waitcnt lgkmcnt(0)
	s_barrier
	s_and_saveexec_b64 s[0:1], vcc
	s_cbranch_execz .LBB25_189
; %bb.27:
	s_load_dwordx4 s[8:11], s[4:5], 0x18
	s_load_dwordx2 s[2:3], s[4:5], 0x0
	v_mov_b32_e32 v19, 0
	ds_read_b32 v1, v19 offset:64
	s_mul_i32 s6, s6, s7
	s_waitcnt lgkmcnt(0)
	s_load_dword s4, s[10:11], 0x0
	s_lshl_b32 s22, s20, 4
	v_lshlrev_b32_e32 v20, 5, v0
	v_lshl_add_u32 v21, v0, 4, s6
	s_lshl_b32 s23, s20, 5
	s_waitcnt lgkmcnt(0)
	v_div_scale_f32 v2, s[0:1], s4, s4, 1.0
	v_rcp_f32_e32 v3, v2
	v_div_scale_f32 v4, vcc, 1.0, s4, 1.0
	s_movk_i32 s24, 0x7fff
	v_fma_f32 v5, -v2, v3, 1.0
	v_fmac_f32_e32 v3, v5, v3
	v_mul_f32_e32 v5, v4, v3
	v_fma_f32 v6, -v2, v5, v4
	v_fmac_f32_e32 v5, v6, v3
	v_fma_f32 v2, -v2, v5, v4
	v_div_fmas_f32 v2, v2, v3, v5
	v_div_fixup_f32 v24, v2, s4, 1.0
	s_mov_b64 s[4:5], 0
	v_mov_b32_e32 v25, 0x7fc00000
	s_movk_i32 s25, 0x7f
	s_mov_b64 s[6:7], 0x7f800000
	s_mov_b64 s[10:11], 0x43700001
	s_movk_i32 s26, 0x78
	s_movk_i32 s27, 0x80
	v_mov_b32_e32 v26, 0x77
	v_mov_b32_e32 v27, 0xffffff8a
	s_branch .LBB25_32
.LBB25_28:                              ;   in Loop: Header=BB25_32 Depth=1
	s_or_b64 exec, exec, s[0:1]
	v_lshrrev_b64 v[2:3], 20, v[2:3]
	v_cmp_gt_i32_e32 vcc, 16, v5
	v_and_b32_sdwa v4, v4, s27 dst_sel:DWORD dst_unused:UNUSED_PAD src0_sel:BYTE_3 src1_sel:DWORD
	v_min_i32_e32 v6, 15, v5
	v_cndmask_b32_e32 v3, 0, v3, vcc
	v_cndmask_b32_e32 v2, 7, v2, vcc
	v_cmp_eq_u32_e32 vcc, 0, v5
	v_cmp_eq_u64_e64 s[0:1], 0, v[2:3]
	v_lshl_or_b32 v3, v6, 3, v4
	v_and_or_b32 v2, v2, 7, v3
	s_and_b64 s[0:1], vcc, s[0:1]
	v_cndmask_b32_e64 v2, v2, 0, s[0:1]
.LBB25_29:                              ;   in Loop: Header=BB25_32 Depth=1
	s_or_b64 exec, exec, s[16:17]
.LBB25_30:                              ;   in Loop: Header=BB25_32 Depth=1
	s_andn2_saveexec_b64 s[0:1], s[14:15]
	s_or_b64 exec, exec, s[0:1]
.LBB25_31:                              ;   in Loop: Header=BB25_32 Depth=1
	s_andn2_saveexec_b64 s[0:1], s[12:13]
	s_or_b64 exec, exec, s[0:1]
	s_add_u32 s8, s8, s23
	s_addc_u32 s9, s9, 0
	v_add_u32_e32 v0, s20, v0
	s_add_u32 s18, s18, s23
	s_addc_u32 s19, s19, 0
	v_cmp_le_i32_e32 vcc, s21, v0
	v_add_u32_e32 v3, 15, v21
	s_or_b64 s[4:5], vcc, s[4:5]
	v_add_u32_e32 v21, s22, v21
	global_store_byte v3, v2, s[2:3]
	s_andn2_b64 exec, exec, s[4:5]
	s_cbranch_execz .LBB25_189
.LBB25_32:                              ; =>This Inner Loop Header: Depth=1
	v_mov_b32_e32 v2, s19
	v_add_co_u32_e32 v22, vcc, s18, v20
	v_addc_co_u32_e32 v23, vcc, 0, v2, vcc
	v_mov_b32_e32 v2, s9
	v_add_co_u32_e32 v28, vcc, s8, v20
	v_addc_co_u32_e32 v29, vcc, 0, v2, vcc
	global_load_dwordx4 v[14:17], v[22:23], off
	global_load_dwordx4 v[10:13], v[28:29], off
	global_load_dwordx4 v[6:9], v[22:23], off offset:16
	global_load_dwordx4 v[2:5], v[28:29], off offset:16
	s_waitcnt vmcnt(3)
	v_lshlrev_b32_e32 v18, 16, v14
	v_mul_f32_e32 v18, v1, v18
	v_bfe_u32 v23, v18, 16, 1
	v_add3_u32 v23, v18, v23, s24
	v_and_b32_e32 v23, 0xffff0000, v23
	v_cmp_o_f32_e32 vcc, v18, v18
	s_waitcnt vmcnt(2)
	v_lshlrev_b32_e32 v22, 16, v10
	v_cndmask_b32_e32 v18, v25, v23, vcc
	v_mul_f32_e32 v18, v18, v22
	v_bfe_u32 v22, v18, 16, 1
	v_add3_u32 v22, v18, v22, s24
	v_and_b32_e32 v22, 0xffff0000, v22
	v_cmp_o_f32_e32 vcc, v18, v18
	v_cndmask_b32_e32 v18, v25, v22, vcc
	v_mul_f32_e32 v18, v24, v18
	v_min_f32_e32 v18, 0x43600000, v18
	v_max_f32_e32 v28, 0xc3600000, v18
	v_and_b32_e32 v18, 0x7f800000, v28
	v_or_b32_sdwa v22, v28, s25 dst_sel:DWORD dst_unused:UNUSED_PAD src0_sel:BYTE_3 src1_sel:DWORD
	v_cmp_ne_u64_e32 vcc, s[6:7], v[18:19]
	s_and_saveexec_b64 s[0:1], vcc
	s_xor_b64 s[12:13], exec, s[0:1]
	s_cbranch_execz .LBB25_42
; %bb.33:                               ;   in Loop: Header=BB25_32 Depth=1
	v_and_b32_e32 v18, 0x7fffffff, v28
	v_cmp_gt_u64_e32 vcc, s[10:11], v[18:19]
	s_and_saveexec_b64 s[0:1], vcc
	s_xor_b64 s[14:15], exec, s[0:1]
	s_cbranch_execz .LBB25_41
; %bb.34:                               ;   in Loop: Header=BB25_32 Depth=1
	v_cmp_ne_u32_e32 vcc, 0, v28
	v_mov_b32_e32 v22, 0
	s_and_saveexec_b64 s[16:17], vcc
	s_cbranch_execz .LBB25_40
; %bb.35:                               ;   in Loop: Header=BB25_32 Depth=1
	v_bfe_u32 v22, v28, 23, 8
	v_sub_u32_e64 v23, s26, v22 clamp
	v_cmp_eq_u32_e32 vcc, 0, v22
	v_cndmask_b32_e32 v33, v23, v26, vcc
	v_and_b32_e32 v18, 0x7fffff, v28
	v_add_u32_e32 v32, 0xffffff89, v22
	v_add_u32_e32 v22, 20, v33
	v_or_b32_e32 v29, 0x800000, v18
	v_lshlrev_b64 v[22:23], v22, -1
	v_cndmask_b32_e32 v18, v29, v18, vcc
	v_not_b32_e32 v22, v22
	v_add_u32_e32 v29, 19, v33
	v_and_b32_e32 v22, v18, v22
	v_mov_b32_e32 v23, v19
	v_lshlrev_b64 v[30:31], v29, 1
	v_cmp_eq_u64_e64 s[0:1], v[22:23], v[30:31]
	v_lshrrev_b64 v[22:23], v33, v[18:19]
	v_cndmask_b32_e32 v18, v32, v27, vcc
	v_lshrrev_b32_e32 v29, 23, v22
	v_add3_u32 v29, v18, v33, v29
	v_and_b32_e32 v18, 0x100000, v22
	v_cmp_eq_u64_e32 vcc, 0, v[18:19]
	s_and_b64 vcc, vcc, s[0:1]
	v_subbrev_co_u32_e32 v18, vcc, 0, v22, vcc
	v_and_b32_e32 v18, 0xfffff, v18
	v_add_co_u32_e32 v22, vcc, v18, v22
	v_add_u32_e32 v30, -1, v29
	v_addc_co_u32_e32 v23, vcc, 0, v23, vcc
	v_cmp_ne_u32_e32 vcc, 0, v30
                                        ; implicit-def: $vgpr18
	s_and_saveexec_b64 s[0:1], vcc
	s_xor_b64 s[0:1], exec, s[0:1]
; %bb.36:                               ;   in Loop: Header=BB25_32 Depth=1
	v_and_b32_e32 v18, 0x1000000, v22
	v_cmp_eq_u64_e32 vcc, 0, v[18:19]
	v_cndmask_b32_e32 v18, v29, v30, vcc
	v_bfe_u32 v29, v22, 24, 1
	v_lshrrev_b64 v[22:23], v29, v[22:23]
; %bb.37:                               ;   in Loop: Header=BB25_32 Depth=1
	s_andn2_saveexec_b64 s[0:1], s[0:1]
; %bb.38:                               ;   in Loop: Header=BB25_32 Depth=1
	v_bfe_u32 v18, v22, 23, 1
; %bb.39:                               ;   in Loop: Header=BB25_32 Depth=1
	s_or_b64 exec, exec, s[0:1]
	v_lshrrev_b64 v[22:23], 20, v[22:23]
	v_cmp_gt_i32_e32 vcc, 16, v18
	v_and_b32_sdwa v28, v28, s27 dst_sel:DWORD dst_unused:UNUSED_PAD src0_sel:BYTE_3 src1_sel:DWORD
	v_min_i32_e32 v29, 15, v18
	v_cndmask_b32_e32 v23, 0, v23, vcc
	v_cndmask_b32_e32 v22, 7, v22, vcc
	v_cmp_eq_u32_e32 vcc, 0, v18
	v_cmp_eq_u64_e64 s[0:1], 0, v[22:23]
	v_lshl_or_b32 v18, v29, 3, v28
	v_and_or_b32 v18, v22, 7, v18
	s_and_b64 s[0:1], vcc, s[0:1]
	v_cndmask_b32_e64 v22, v18, 0, s[0:1]
.LBB25_40:                              ;   in Loop: Header=BB25_32 Depth=1
	s_or_b64 exec, exec, s[16:17]
.LBB25_41:                              ;   in Loop: Header=BB25_32 Depth=1
	s_andn2_saveexec_b64 s[0:1], s[14:15]
	s_or_b64 exec, exec, s[0:1]
.LBB25_42:                              ;   in Loop: Header=BB25_32 Depth=1
	s_andn2_saveexec_b64 s[0:1], s[12:13]
	s_or_b64 exec, exec, s[0:1]
	v_and_b32_e32 v14, 0xffff0000, v14
	v_mul_f32_e32 v14, v1, v14
	v_bfe_u32 v18, v14, 16, 1
	v_add3_u32 v18, v14, v18, s24
	v_and_b32_e32 v18, 0xffff0000, v18
	v_cmp_o_f32_e32 vcc, v14, v14
	v_cndmask_b32_e32 v14, v25, v18, vcc
	v_and_b32_e32 v10, 0xffff0000, v10
	v_mul_f32_e32 v10, v14, v10
	v_bfe_u32 v14, v10, 16, 1
	v_add3_u32 v14, v10, v14, s24
	v_and_b32_e32 v14, 0xffff0000, v14
	v_cmp_o_f32_e32 vcc, v10, v10
	v_cndmask_b32_e32 v10, v25, v14, vcc
	v_mul_f32_e32 v10, v24, v10
	v_min_f32_e32 v10, 0x43600000, v10
	v_max_f32_e32 v10, 0xc3600000, v10
	v_and_b32_e32 v18, 0x7f800000, v10
	v_or_b32_sdwa v14, v10, s25 dst_sel:DWORD dst_unused:UNUSED_PAD src0_sel:BYTE_3 src1_sel:DWORD
	v_cmp_ne_u64_e32 vcc, s[6:7], v[18:19]
	global_store_byte v21, v22, s[2:3]
	s_and_saveexec_b64 s[0:1], vcc
	s_xor_b64 s[12:13], exec, s[0:1]
	s_cbranch_execz .LBB25_52
; %bb.43:                               ;   in Loop: Header=BB25_32 Depth=1
	v_and_b32_e32 v18, 0x7fffffff, v10
	v_cmp_gt_u64_e32 vcc, s[10:11], v[18:19]
	s_and_saveexec_b64 s[0:1], vcc
	s_xor_b64 s[14:15], exec, s[0:1]
	s_cbranch_execz .LBB25_51
; %bb.44:                               ;   in Loop: Header=BB25_32 Depth=1
	v_cmp_ne_u32_e32 vcc, 0, v10
	v_mov_b32_e32 v14, 0
	s_and_saveexec_b64 s[16:17], vcc
	s_cbranch_execz .LBB25_50
; %bb.45:                               ;   in Loop: Header=BB25_32 Depth=1
	v_bfe_u32 v18, v10, 23, 8
	v_and_b32_e32 v14, 0x7fffff, v10
	v_sub_u32_e64 v22, s26, v18 clamp
	v_cmp_eq_u32_e32 vcc, 0, v18
	v_or_b32_e32 v23, 0x800000, v14
	v_cndmask_b32_e32 v31, v22, v26, vcc
	v_add_u32_e32 v30, 0xffffff89, v18
	v_cndmask_b32_e32 v18, v23, v14, vcc
	v_add_u32_e32 v14, 20, v31
	v_lshlrev_b64 v[22:23], v14, -1
	v_not_b32_e32 v14, v22
	v_and_b32_e32 v22, v18, v14
	v_add_u32_e32 v14, 19, v31
	v_mov_b32_e32 v23, v19
	v_lshlrev_b64 v[28:29], v14, 1
	v_cmp_eq_u64_e64 s[0:1], v[22:23], v[28:29]
	v_lshrrev_b64 v[22:23], v31, v[18:19]
	v_cndmask_b32_e32 v14, v30, v27, vcc
	v_lshrrev_b32_e32 v18, 23, v22
	v_add3_u32 v28, v14, v31, v18
	v_and_b32_e32 v18, 0x100000, v22
	v_cmp_eq_u64_e32 vcc, 0, v[18:19]
	s_and_b64 vcc, vcc, s[0:1]
	v_subbrev_co_u32_e32 v14, vcc, 0, v22, vcc
	v_and_b32_e32 v14, 0xfffff, v14
	v_add_co_u32_e32 v22, vcc, v14, v22
	v_add_u32_e32 v29, -1, v28
	v_addc_co_u32_e32 v23, vcc, 0, v23, vcc
	v_cmp_ne_u32_e32 vcc, 0, v29
                                        ; implicit-def: $vgpr14
	s_and_saveexec_b64 s[0:1], vcc
	s_xor_b64 s[0:1], exec, s[0:1]
; %bb.46:                               ;   in Loop: Header=BB25_32 Depth=1
	v_and_b32_e32 v18, 0x1000000, v22
	v_cmp_eq_u64_e32 vcc, 0, v[18:19]
	v_bfe_u32 v18, v22, 24, 1
	v_cndmask_b32_e32 v14, v28, v29, vcc
	v_lshrrev_b64 v[22:23], v18, v[22:23]
; %bb.47:                               ;   in Loop: Header=BB25_32 Depth=1
	s_andn2_saveexec_b64 s[0:1], s[0:1]
; %bb.48:                               ;   in Loop: Header=BB25_32 Depth=1
	v_bfe_u32 v14, v22, 23, 1
; %bb.49:                               ;   in Loop: Header=BB25_32 Depth=1
	s_or_b64 exec, exec, s[0:1]
	v_lshrrev_b64 v[22:23], 20, v[22:23]
	v_cmp_gt_i32_e32 vcc, 16, v14
	v_and_b32_sdwa v10, v10, s27 dst_sel:DWORD dst_unused:UNUSED_PAD src0_sel:BYTE_3 src1_sel:DWORD
	v_min_i32_e32 v18, 15, v14
	v_cndmask_b32_e32 v23, 0, v23, vcc
	v_cndmask_b32_e32 v22, 7, v22, vcc
	v_cmp_eq_u32_e32 vcc, 0, v14
	v_cmp_eq_u64_e64 s[0:1], 0, v[22:23]
	v_lshl_or_b32 v10, v18, 3, v10
	v_and_or_b32 v10, v22, 7, v10
	s_and_b64 s[0:1], vcc, s[0:1]
	v_cndmask_b32_e64 v14, v10, 0, s[0:1]
.LBB25_50:                              ;   in Loop: Header=BB25_32 Depth=1
	s_or_b64 exec, exec, s[16:17]
.LBB25_51:                              ;   in Loop: Header=BB25_32 Depth=1
	s_andn2_saveexec_b64 s[0:1], s[14:15]
	s_or_b64 exec, exec, s[0:1]
.LBB25_52:                              ;   in Loop: Header=BB25_32 Depth=1
	s_andn2_saveexec_b64 s[0:1], s[12:13]
	s_or_b64 exec, exec, s[0:1]
	v_add_u32_e32 v10, 1, v21
	global_store_byte v10, v14, s[2:3]
	v_lshlrev_b32_e32 v10, 16, v15
	v_mul_f32_e32 v10, v1, v10
	v_bfe_u32 v14, v10, 16, 1
	v_add3_u32 v14, v10, v14, s24
	v_and_b32_e32 v14, 0xffff0000, v14
	v_cmp_o_f32_e32 vcc, v10, v10
	v_cndmask_b32_e32 v10, v25, v14, vcc
	v_lshlrev_b32_e32 v14, 16, v11
	v_mul_f32_e32 v10, v10, v14
	v_bfe_u32 v14, v10, 16, 1
	v_add3_u32 v14, v10, v14, s24
	v_and_b32_e32 v14, 0xffff0000, v14
	v_cmp_o_f32_e32 vcc, v10, v10
	v_cndmask_b32_e32 v10, v25, v14, vcc
	v_mul_f32_e32 v10, v24, v10
	v_min_f32_e32 v10, 0x43600000, v10
	v_max_f32_e32 v10, 0xc3600000, v10
	v_and_b32_e32 v18, 0x7f800000, v10
	v_or_b32_sdwa v14, v10, s25 dst_sel:DWORD dst_unused:UNUSED_PAD src0_sel:BYTE_3 src1_sel:DWORD
	v_cmp_ne_u64_e32 vcc, s[6:7], v[18:19]
	s_and_saveexec_b64 s[0:1], vcc
	s_xor_b64 s[12:13], exec, s[0:1]
	s_cbranch_execz .LBB25_62
; %bb.53:                               ;   in Loop: Header=BB25_32 Depth=1
	v_and_b32_e32 v18, 0x7fffffff, v10
	v_cmp_gt_u64_e32 vcc, s[10:11], v[18:19]
	s_and_saveexec_b64 s[0:1], vcc
	s_xor_b64 s[14:15], exec, s[0:1]
	s_cbranch_execz .LBB25_61
; %bb.54:                               ;   in Loop: Header=BB25_32 Depth=1
	v_cmp_ne_u32_e32 vcc, 0, v10
	v_mov_b32_e32 v14, 0
	s_and_saveexec_b64 s[16:17], vcc
	s_cbranch_execz .LBB25_60
; %bb.55:                               ;   in Loop: Header=BB25_32 Depth=1
	v_bfe_u32 v18, v10, 23, 8
	v_and_b32_e32 v14, 0x7fffff, v10
	v_sub_u32_e64 v22, s26, v18 clamp
	v_cmp_eq_u32_e32 vcc, 0, v18
	v_or_b32_e32 v23, 0x800000, v14
	v_cndmask_b32_e32 v31, v22, v26, vcc
	v_add_u32_e32 v30, 0xffffff89, v18
	v_cndmask_b32_e32 v18, v23, v14, vcc
	v_add_u32_e32 v14, 20, v31
	v_lshlrev_b64 v[22:23], v14, -1
	v_not_b32_e32 v14, v22
	v_and_b32_e32 v22, v18, v14
	v_add_u32_e32 v14, 19, v31
	v_mov_b32_e32 v23, v19
	v_lshlrev_b64 v[28:29], v14, 1
	v_cmp_eq_u64_e64 s[0:1], v[22:23], v[28:29]
	v_lshrrev_b64 v[22:23], v31, v[18:19]
	v_cndmask_b32_e32 v14, v30, v27, vcc
	v_lshrrev_b32_e32 v18, 23, v22
	v_add3_u32 v28, v14, v31, v18
	v_and_b32_e32 v18, 0x100000, v22
	v_cmp_eq_u64_e32 vcc, 0, v[18:19]
	s_and_b64 vcc, vcc, s[0:1]
	v_subbrev_co_u32_e32 v14, vcc, 0, v22, vcc
	v_and_b32_e32 v14, 0xfffff, v14
	v_add_co_u32_e32 v22, vcc, v14, v22
	v_add_u32_e32 v29, -1, v28
	v_addc_co_u32_e32 v23, vcc, 0, v23, vcc
	v_cmp_ne_u32_e32 vcc, 0, v29
                                        ; implicit-def: $vgpr14
	s_and_saveexec_b64 s[0:1], vcc
	s_xor_b64 s[0:1], exec, s[0:1]
; %bb.56:                               ;   in Loop: Header=BB25_32 Depth=1
	v_and_b32_e32 v18, 0x1000000, v22
	v_cmp_eq_u64_e32 vcc, 0, v[18:19]
	v_bfe_u32 v18, v22, 24, 1
	v_cndmask_b32_e32 v14, v28, v29, vcc
	v_lshrrev_b64 v[22:23], v18, v[22:23]
; %bb.57:                               ;   in Loop: Header=BB25_32 Depth=1
	s_andn2_saveexec_b64 s[0:1], s[0:1]
; %bb.58:                               ;   in Loop: Header=BB25_32 Depth=1
	v_bfe_u32 v14, v22, 23, 1
; %bb.59:                               ;   in Loop: Header=BB25_32 Depth=1
	s_or_b64 exec, exec, s[0:1]
	v_lshrrev_b64 v[22:23], 20, v[22:23]
	v_cmp_gt_i32_e32 vcc, 16, v14
	v_and_b32_sdwa v10, v10, s27 dst_sel:DWORD dst_unused:UNUSED_PAD src0_sel:BYTE_3 src1_sel:DWORD
	v_min_i32_e32 v18, 15, v14
	v_cndmask_b32_e32 v23, 0, v23, vcc
	v_cndmask_b32_e32 v22, 7, v22, vcc
	v_cmp_eq_u32_e32 vcc, 0, v14
	v_cmp_eq_u64_e64 s[0:1], 0, v[22:23]
	v_lshl_or_b32 v10, v18, 3, v10
	v_and_or_b32 v10, v22, 7, v10
	s_and_b64 s[0:1], vcc, s[0:1]
	v_cndmask_b32_e64 v14, v10, 0, s[0:1]
.LBB25_60:                              ;   in Loop: Header=BB25_32 Depth=1
	s_or_b64 exec, exec, s[16:17]
.LBB25_61:                              ;   in Loop: Header=BB25_32 Depth=1
	s_andn2_saveexec_b64 s[0:1], s[14:15]
	s_or_b64 exec, exec, s[0:1]
.LBB25_62:                              ;   in Loop: Header=BB25_32 Depth=1
	s_andn2_saveexec_b64 s[0:1], s[12:13]
	s_or_b64 exec, exec, s[0:1]
	v_add_u32_e32 v10, 2, v21
	global_store_byte v10, v14, s[2:3]
	v_and_b32_e32 v10, 0xffff0000, v15
	v_mul_f32_e32 v10, v1, v10
	v_bfe_u32 v14, v10, 16, 1
	v_add3_u32 v14, v10, v14, s24
	v_and_b32_e32 v14, 0xffff0000, v14
	v_cmp_o_f32_e32 vcc, v10, v10
	v_cndmask_b32_e32 v10, v25, v14, vcc
	v_and_b32_e32 v11, 0xffff0000, v11
	v_mul_f32_e32 v10, v10, v11
	v_bfe_u32 v11, v10, 16, 1
	v_add3_u32 v11, v10, v11, s24
	v_and_b32_e32 v11, 0xffff0000, v11
	v_cmp_o_f32_e32 vcc, v10, v10
	v_cndmask_b32_e32 v10, v25, v11, vcc
	v_mul_f32_e32 v10, v24, v10
	v_min_f32_e32 v10, 0x43600000, v10
	v_max_f32_e32 v14, 0xc3600000, v10
	v_and_b32_e32 v18, 0x7f800000, v14
	v_or_b32_sdwa v10, v14, s25 dst_sel:DWORD dst_unused:UNUSED_PAD src0_sel:BYTE_3 src1_sel:DWORD
	v_cmp_ne_u64_e32 vcc, s[6:7], v[18:19]
	s_and_saveexec_b64 s[0:1], vcc
	s_xor_b64 s[12:13], exec, s[0:1]
	s_cbranch_execz .LBB25_72
; %bb.63:                               ;   in Loop: Header=BB25_32 Depth=1
	v_and_b32_e32 v18, 0x7fffffff, v14
	v_cmp_gt_u64_e32 vcc, s[10:11], v[18:19]
	s_and_saveexec_b64 s[0:1], vcc
	s_xor_b64 s[14:15], exec, s[0:1]
	s_cbranch_execz .LBB25_71
; %bb.64:                               ;   in Loop: Header=BB25_32 Depth=1
	v_cmp_ne_u32_e32 vcc, 0, v14
	v_mov_b32_e32 v10, 0
	s_and_saveexec_b64 s[16:17], vcc
	s_cbranch_execz .LBB25_70
; %bb.65:                               ;   in Loop: Header=BB25_32 Depth=1
	v_bfe_u32 v11, v14, 23, 8
	v_and_b32_e32 v10, 0x7fffff, v14
	v_sub_u32_e64 v15, s26, v11 clamp
	v_cmp_eq_u32_e32 vcc, 0, v11
	v_or_b32_e32 v18, 0x800000, v10
	v_cndmask_b32_e32 v15, v15, v26, vcc
	v_cndmask_b32_e32 v18, v18, v10, vcc
	v_add_u32_e32 v10, 20, v15
	v_add_u32_e32 v28, 0xffffff89, v11
	v_lshlrev_b64 v[10:11], v10, -1
	v_not_b32_e32 v10, v10
	v_add_u32_e32 v22, 19, v15
	v_and_b32_e32 v10, v18, v10
	v_mov_b32_e32 v11, v19
	v_lshlrev_b64 v[22:23], v22, 1
	v_cmp_eq_u64_e64 s[0:1], v[10:11], v[22:23]
	v_lshrrev_b64 v[10:11], v15, v[18:19]
	v_cndmask_b32_e32 v18, v28, v27, vcc
	v_lshrrev_b32_e32 v22, 23, v10
	v_add3_u32 v22, v18, v15, v22
	v_and_b32_e32 v18, 0x100000, v10
	v_cmp_eq_u64_e32 vcc, 0, v[18:19]
	s_and_b64 vcc, vcc, s[0:1]
	v_subbrev_co_u32_e32 v15, vcc, 0, v10, vcc
	v_and_b32_e32 v15, 0xfffff, v15
	v_add_co_u32_e32 v10, vcc, v15, v10
	v_add_u32_e32 v23, -1, v22
	v_addc_co_u32_e32 v11, vcc, 0, v11, vcc
	v_cmp_ne_u32_e32 vcc, 0, v23
                                        ; implicit-def: $vgpr15
	s_and_saveexec_b64 s[0:1], vcc
	s_xor_b64 s[0:1], exec, s[0:1]
; %bb.66:                               ;   in Loop: Header=BB25_32 Depth=1
	v_and_b32_e32 v18, 0x1000000, v10
	v_cmp_eq_u64_e32 vcc, 0, v[18:19]
	v_bfe_u32 v18, v10, 24, 1
	v_cndmask_b32_e32 v15, v22, v23, vcc
	v_lshrrev_b64 v[10:11], v18, v[10:11]
; %bb.67:                               ;   in Loop: Header=BB25_32 Depth=1
	s_andn2_saveexec_b64 s[0:1], s[0:1]
; %bb.68:                               ;   in Loop: Header=BB25_32 Depth=1
	v_bfe_u32 v15, v10, 23, 1
; %bb.69:                               ;   in Loop: Header=BB25_32 Depth=1
	s_or_b64 exec, exec, s[0:1]
	v_lshrrev_b64 v[10:11], 20, v[10:11]
	v_cmp_gt_i32_e32 vcc, 16, v15
	v_and_b32_sdwa v14, v14, s27 dst_sel:DWORD dst_unused:UNUSED_PAD src0_sel:BYTE_3 src1_sel:DWORD
	v_min_i32_e32 v18, 15, v15
	v_cndmask_b32_e32 v11, 0, v11, vcc
	v_cndmask_b32_e32 v10, 7, v10, vcc
	v_cmp_eq_u32_e32 vcc, 0, v15
	v_cmp_eq_u64_e64 s[0:1], 0, v[10:11]
	v_lshl_or_b32 v11, v18, 3, v14
	v_and_or_b32 v10, v10, 7, v11
	s_and_b64 s[0:1], vcc, s[0:1]
	v_cndmask_b32_e64 v10, v10, 0, s[0:1]
.LBB25_70:                              ;   in Loop: Header=BB25_32 Depth=1
	s_or_b64 exec, exec, s[16:17]
.LBB25_71:                              ;   in Loop: Header=BB25_32 Depth=1
	s_andn2_saveexec_b64 s[0:1], s[14:15]
	s_or_b64 exec, exec, s[0:1]
.LBB25_72:                              ;   in Loop: Header=BB25_32 Depth=1
	s_andn2_saveexec_b64 s[0:1], s[12:13]
	s_or_b64 exec, exec, s[0:1]
	v_add_u32_e32 v11, 3, v21
	global_store_byte v11, v10, s[2:3]
	v_lshlrev_b32_e32 v10, 16, v16
	v_mul_f32_e32 v10, v1, v10
	v_bfe_u32 v11, v10, 16, 1
	v_add3_u32 v11, v10, v11, s24
	v_and_b32_e32 v11, 0xffff0000, v11
	v_cmp_o_f32_e32 vcc, v10, v10
	v_cndmask_b32_e32 v10, v25, v11, vcc
	v_lshlrev_b32_e32 v11, 16, v12
	v_mul_f32_e32 v10, v10, v11
	v_bfe_u32 v11, v10, 16, 1
	v_add3_u32 v11, v10, v11, s24
	v_and_b32_e32 v11, 0xffff0000, v11
	v_cmp_o_f32_e32 vcc, v10, v10
	v_cndmask_b32_e32 v10, v25, v11, vcc
	v_mul_f32_e32 v10, v24, v10
	v_min_f32_e32 v10, 0x43600000, v10
	v_max_f32_e32 v14, 0xc3600000, v10
	v_and_b32_e32 v18, 0x7f800000, v14
	v_or_b32_sdwa v10, v14, s25 dst_sel:DWORD dst_unused:UNUSED_PAD src0_sel:BYTE_3 src1_sel:DWORD
	v_cmp_ne_u64_e32 vcc, s[6:7], v[18:19]
	s_and_saveexec_b64 s[0:1], vcc
	s_xor_b64 s[12:13], exec, s[0:1]
	s_cbranch_execz .LBB25_82
; %bb.73:                               ;   in Loop: Header=BB25_32 Depth=1
	v_and_b32_e32 v18, 0x7fffffff, v14
	v_cmp_gt_u64_e32 vcc, s[10:11], v[18:19]
	s_and_saveexec_b64 s[0:1], vcc
	s_xor_b64 s[14:15], exec, s[0:1]
	s_cbranch_execz .LBB25_81
; %bb.74:                               ;   in Loop: Header=BB25_32 Depth=1
	v_cmp_ne_u32_e32 vcc, 0, v14
	v_mov_b32_e32 v10, 0
	s_and_saveexec_b64 s[16:17], vcc
	s_cbranch_execz .LBB25_80
; %bb.75:                               ;   in Loop: Header=BB25_32 Depth=1
	v_bfe_u32 v11, v14, 23, 8
	v_and_b32_e32 v10, 0x7fffff, v14
	v_sub_u32_e64 v15, s26, v11 clamp
	v_cmp_eq_u32_e32 vcc, 0, v11
	v_or_b32_e32 v18, 0x800000, v10
	v_cndmask_b32_e32 v15, v15, v26, vcc
	v_cndmask_b32_e32 v18, v18, v10, vcc
	v_add_u32_e32 v10, 20, v15
	v_add_u32_e32 v28, 0xffffff89, v11
	v_lshlrev_b64 v[10:11], v10, -1
	v_not_b32_e32 v10, v10
	v_add_u32_e32 v22, 19, v15
	v_and_b32_e32 v10, v18, v10
	v_mov_b32_e32 v11, v19
	v_lshlrev_b64 v[22:23], v22, 1
	v_cmp_eq_u64_e64 s[0:1], v[10:11], v[22:23]
	v_lshrrev_b64 v[10:11], v15, v[18:19]
	v_cndmask_b32_e32 v18, v28, v27, vcc
	v_lshrrev_b32_e32 v22, 23, v10
	v_add3_u32 v22, v18, v15, v22
	v_and_b32_e32 v18, 0x100000, v10
	v_cmp_eq_u64_e32 vcc, 0, v[18:19]
	s_and_b64 vcc, vcc, s[0:1]
	v_subbrev_co_u32_e32 v15, vcc, 0, v10, vcc
	v_and_b32_e32 v15, 0xfffff, v15
	v_add_co_u32_e32 v10, vcc, v15, v10
	v_add_u32_e32 v23, -1, v22
	v_addc_co_u32_e32 v11, vcc, 0, v11, vcc
	v_cmp_ne_u32_e32 vcc, 0, v23
                                        ; implicit-def: $vgpr15
	s_and_saveexec_b64 s[0:1], vcc
	s_xor_b64 s[0:1], exec, s[0:1]
; %bb.76:                               ;   in Loop: Header=BB25_32 Depth=1
	v_and_b32_e32 v18, 0x1000000, v10
	v_cmp_eq_u64_e32 vcc, 0, v[18:19]
	v_bfe_u32 v18, v10, 24, 1
	v_cndmask_b32_e32 v15, v22, v23, vcc
	v_lshrrev_b64 v[10:11], v18, v[10:11]
; %bb.77:                               ;   in Loop: Header=BB25_32 Depth=1
	s_andn2_saveexec_b64 s[0:1], s[0:1]
; %bb.78:                               ;   in Loop: Header=BB25_32 Depth=1
	v_bfe_u32 v15, v10, 23, 1
; %bb.79:                               ;   in Loop: Header=BB25_32 Depth=1
	s_or_b64 exec, exec, s[0:1]
	v_lshrrev_b64 v[10:11], 20, v[10:11]
	v_cmp_gt_i32_e32 vcc, 16, v15
	v_and_b32_sdwa v14, v14, s27 dst_sel:DWORD dst_unused:UNUSED_PAD src0_sel:BYTE_3 src1_sel:DWORD
	v_min_i32_e32 v18, 15, v15
	v_cndmask_b32_e32 v11, 0, v11, vcc
	v_cndmask_b32_e32 v10, 7, v10, vcc
	v_cmp_eq_u32_e32 vcc, 0, v15
	v_cmp_eq_u64_e64 s[0:1], 0, v[10:11]
	v_lshl_or_b32 v11, v18, 3, v14
	v_and_or_b32 v10, v10, 7, v11
	s_and_b64 s[0:1], vcc, s[0:1]
	v_cndmask_b32_e64 v10, v10, 0, s[0:1]
.LBB25_80:                              ;   in Loop: Header=BB25_32 Depth=1
	s_or_b64 exec, exec, s[16:17]
.LBB25_81:                              ;   in Loop: Header=BB25_32 Depth=1
	s_andn2_saveexec_b64 s[0:1], s[14:15]
	s_or_b64 exec, exec, s[0:1]
.LBB25_82:                              ;   in Loop: Header=BB25_32 Depth=1
	s_andn2_saveexec_b64 s[0:1], s[12:13]
	s_or_b64 exec, exec, s[0:1]
	v_add_u32_e32 v11, 4, v21
	global_store_byte v11, v10, s[2:3]
	v_and_b32_e32 v10, 0xffff0000, v16
	v_mul_f32_e32 v10, v1, v10
	v_bfe_u32 v11, v10, 16, 1
	v_add3_u32 v11, v10, v11, s24
	v_and_b32_e32 v11, 0xffff0000, v11
	v_cmp_o_f32_e32 vcc, v10, v10
	v_cndmask_b32_e32 v10, v25, v11, vcc
	v_and_b32_e32 v11, 0xffff0000, v12
	v_mul_f32_e32 v10, v10, v11
	v_bfe_u32 v11, v10, 16, 1
	v_add3_u32 v11, v10, v11, s24
	v_and_b32_e32 v11, 0xffff0000, v11
	v_cmp_o_f32_e32 vcc, v10, v10
	v_cndmask_b32_e32 v10, v25, v11, vcc
	v_mul_f32_e32 v10, v24, v10
	v_min_f32_e32 v10, 0x43600000, v10
	v_max_f32_e32 v12, 0xc3600000, v10
	v_and_b32_e32 v18, 0x7f800000, v12
	v_or_b32_sdwa v10, v12, s25 dst_sel:DWORD dst_unused:UNUSED_PAD src0_sel:BYTE_3 src1_sel:DWORD
	v_cmp_ne_u64_e32 vcc, s[6:7], v[18:19]
	s_and_saveexec_b64 s[0:1], vcc
	s_xor_b64 s[12:13], exec, s[0:1]
	s_cbranch_execz .LBB25_92
; %bb.83:                               ;   in Loop: Header=BB25_32 Depth=1
	v_and_b32_e32 v18, 0x7fffffff, v12
	v_cmp_gt_u64_e32 vcc, s[10:11], v[18:19]
	s_and_saveexec_b64 s[0:1], vcc
	s_xor_b64 s[14:15], exec, s[0:1]
	s_cbranch_execz .LBB25_91
; %bb.84:                               ;   in Loop: Header=BB25_32 Depth=1
	v_cmp_ne_u32_e32 vcc, 0, v12
	v_mov_b32_e32 v10, 0
	s_and_saveexec_b64 s[16:17], vcc
	s_cbranch_execz .LBB25_90
; %bb.85:                               ;   in Loop: Header=BB25_32 Depth=1
	v_bfe_u32 v11, v12, 23, 8
	v_and_b32_e32 v10, 0x7fffff, v12
	v_sub_u32_e64 v14, s26, v11 clamp
	v_cmp_eq_u32_e32 vcc, 0, v11
	v_or_b32_e32 v15, 0x800000, v10
	v_cndmask_b32_e32 v22, v14, v26, vcc
	v_cndmask_b32_e32 v18, v15, v10, vcc
	v_add_u32_e32 v10, 20, v22
	v_add_u32_e32 v16, 0xffffff89, v11
	v_lshlrev_b64 v[10:11], v10, -1
	v_not_b32_e32 v10, v10
	v_add_u32_e32 v14, 19, v22
	v_and_b32_e32 v10, v18, v10
	v_mov_b32_e32 v11, v19
	v_lshlrev_b64 v[14:15], v14, 1
	v_cmp_eq_u64_e64 s[0:1], v[10:11], v[14:15]
	v_lshrrev_b64 v[10:11], v22, v[18:19]
	v_and_b32_e32 v18, 0x100000, v10
	v_cndmask_b32_e32 v14, v16, v27, vcc
	v_cmp_eq_u64_e32 vcc, 0, v[18:19]
	v_lshrrev_b32_e32 v15, 23, v10
	s_and_b64 vcc, vcc, s[0:1]
	v_add3_u32 v15, v14, v22, v15
	v_subbrev_co_u32_e32 v14, vcc, 0, v10, vcc
	v_and_b32_e32 v14, 0xfffff, v14
	v_add_co_u32_e32 v10, vcc, v14, v10
	v_add_u32_e32 v16, -1, v15
	v_addc_co_u32_e32 v11, vcc, 0, v11, vcc
	v_cmp_ne_u32_e32 vcc, 0, v16
                                        ; implicit-def: $vgpr14
	s_and_saveexec_b64 s[0:1], vcc
	s_xor_b64 s[0:1], exec, s[0:1]
; %bb.86:                               ;   in Loop: Header=BB25_32 Depth=1
	v_and_b32_e32 v18, 0x1000000, v10
	v_cmp_eq_u64_e32 vcc, 0, v[18:19]
	v_cndmask_b32_e32 v14, v15, v16, vcc
	v_bfe_u32 v15, v10, 24, 1
	v_lshrrev_b64 v[10:11], v15, v[10:11]
; %bb.87:                               ;   in Loop: Header=BB25_32 Depth=1
	s_andn2_saveexec_b64 s[0:1], s[0:1]
; %bb.88:                               ;   in Loop: Header=BB25_32 Depth=1
	v_bfe_u32 v14, v10, 23, 1
; %bb.89:                               ;   in Loop: Header=BB25_32 Depth=1
	s_or_b64 exec, exec, s[0:1]
	v_lshrrev_b64 v[10:11], 20, v[10:11]
	v_cmp_gt_i32_e32 vcc, 16, v14
	v_and_b32_sdwa v12, v12, s27 dst_sel:DWORD dst_unused:UNUSED_PAD src0_sel:BYTE_3 src1_sel:DWORD
	v_min_i32_e32 v15, 15, v14
	v_cndmask_b32_e32 v11, 0, v11, vcc
	v_cndmask_b32_e32 v10, 7, v10, vcc
	v_cmp_eq_u32_e32 vcc, 0, v14
	v_cmp_eq_u64_e64 s[0:1], 0, v[10:11]
	v_lshl_or_b32 v11, v15, 3, v12
	v_and_or_b32 v10, v10, 7, v11
	s_and_b64 s[0:1], vcc, s[0:1]
	v_cndmask_b32_e64 v10, v10, 0, s[0:1]
.LBB25_90:                              ;   in Loop: Header=BB25_32 Depth=1
	s_or_b64 exec, exec, s[16:17]
.LBB25_91:                              ;   in Loop: Header=BB25_32 Depth=1
	s_andn2_saveexec_b64 s[0:1], s[14:15]
	s_or_b64 exec, exec, s[0:1]
.LBB25_92:                              ;   in Loop: Header=BB25_32 Depth=1
	s_andn2_saveexec_b64 s[0:1], s[12:13]
	s_or_b64 exec, exec, s[0:1]
	v_add_u32_e32 v11, 5, v21
	global_store_byte v11, v10, s[2:3]
	v_lshlrev_b32_e32 v10, 16, v17
	v_mul_f32_e32 v10, v1, v10
	v_bfe_u32 v11, v10, 16, 1
	v_add3_u32 v11, v10, v11, s24
	v_and_b32_e32 v11, 0xffff0000, v11
	v_cmp_o_f32_e32 vcc, v10, v10
	v_cndmask_b32_e32 v10, v25, v11, vcc
	v_lshlrev_b32_e32 v11, 16, v13
	v_mul_f32_e32 v10, v10, v11
	v_bfe_u32 v11, v10, 16, 1
	v_add3_u32 v11, v10, v11, s24
	v_and_b32_e32 v11, 0xffff0000, v11
	v_cmp_o_f32_e32 vcc, v10, v10
	v_cndmask_b32_e32 v10, v25, v11, vcc
	v_mul_f32_e32 v10, v24, v10
	v_min_f32_e32 v10, 0x43600000, v10
	v_max_f32_e32 v12, 0xc3600000, v10
	v_and_b32_e32 v18, 0x7f800000, v12
	v_or_b32_sdwa v10, v12, s25 dst_sel:DWORD dst_unused:UNUSED_PAD src0_sel:BYTE_3 src1_sel:DWORD
	v_cmp_ne_u64_e32 vcc, s[6:7], v[18:19]
	s_and_saveexec_b64 s[0:1], vcc
	s_xor_b64 s[12:13], exec, s[0:1]
	s_cbranch_execz .LBB25_102
; %bb.93:                               ;   in Loop: Header=BB25_32 Depth=1
	v_and_b32_e32 v18, 0x7fffffff, v12
	v_cmp_gt_u64_e32 vcc, s[10:11], v[18:19]
	s_and_saveexec_b64 s[0:1], vcc
	s_xor_b64 s[14:15], exec, s[0:1]
	s_cbranch_execz .LBB25_101
; %bb.94:                               ;   in Loop: Header=BB25_32 Depth=1
	v_cmp_ne_u32_e32 vcc, 0, v12
	v_mov_b32_e32 v10, 0
	s_and_saveexec_b64 s[16:17], vcc
	s_cbranch_execz .LBB25_100
; %bb.95:                               ;   in Loop: Header=BB25_32 Depth=1
	v_bfe_u32 v11, v12, 23, 8
	v_and_b32_e32 v10, 0x7fffff, v12
	v_sub_u32_e64 v14, s26, v11 clamp
	v_cmp_eq_u32_e32 vcc, 0, v11
	v_or_b32_e32 v15, 0x800000, v10
	v_cndmask_b32_e32 v22, v14, v26, vcc
	v_cndmask_b32_e32 v18, v15, v10, vcc
	v_add_u32_e32 v10, 20, v22
	v_add_u32_e32 v16, 0xffffff89, v11
	v_lshlrev_b64 v[10:11], v10, -1
	v_not_b32_e32 v10, v10
	v_add_u32_e32 v14, 19, v22
	v_and_b32_e32 v10, v18, v10
	v_mov_b32_e32 v11, v19
	v_lshlrev_b64 v[14:15], v14, 1
	v_cmp_eq_u64_e64 s[0:1], v[10:11], v[14:15]
	v_lshrrev_b64 v[10:11], v22, v[18:19]
	v_and_b32_e32 v18, 0x100000, v10
	v_cndmask_b32_e32 v14, v16, v27, vcc
	v_cmp_eq_u64_e32 vcc, 0, v[18:19]
	v_lshrrev_b32_e32 v15, 23, v10
	s_and_b64 vcc, vcc, s[0:1]
	v_add3_u32 v15, v14, v22, v15
	v_subbrev_co_u32_e32 v14, vcc, 0, v10, vcc
	v_and_b32_e32 v14, 0xfffff, v14
	v_add_co_u32_e32 v10, vcc, v14, v10
	v_add_u32_e32 v16, -1, v15
	v_addc_co_u32_e32 v11, vcc, 0, v11, vcc
	v_cmp_ne_u32_e32 vcc, 0, v16
                                        ; implicit-def: $vgpr14
	s_and_saveexec_b64 s[0:1], vcc
	s_xor_b64 s[0:1], exec, s[0:1]
; %bb.96:                               ;   in Loop: Header=BB25_32 Depth=1
	v_and_b32_e32 v18, 0x1000000, v10
	v_cmp_eq_u64_e32 vcc, 0, v[18:19]
	v_cndmask_b32_e32 v14, v15, v16, vcc
	v_bfe_u32 v15, v10, 24, 1
	v_lshrrev_b64 v[10:11], v15, v[10:11]
; %bb.97:                               ;   in Loop: Header=BB25_32 Depth=1
	s_andn2_saveexec_b64 s[0:1], s[0:1]
; %bb.98:                               ;   in Loop: Header=BB25_32 Depth=1
	v_bfe_u32 v14, v10, 23, 1
; %bb.99:                               ;   in Loop: Header=BB25_32 Depth=1
	s_or_b64 exec, exec, s[0:1]
	v_lshrrev_b64 v[10:11], 20, v[10:11]
	v_cmp_gt_i32_e32 vcc, 16, v14
	v_and_b32_sdwa v12, v12, s27 dst_sel:DWORD dst_unused:UNUSED_PAD src0_sel:BYTE_3 src1_sel:DWORD
	v_min_i32_e32 v15, 15, v14
	v_cndmask_b32_e32 v11, 0, v11, vcc
	v_cndmask_b32_e32 v10, 7, v10, vcc
	v_cmp_eq_u32_e32 vcc, 0, v14
	v_cmp_eq_u64_e64 s[0:1], 0, v[10:11]
	v_lshl_or_b32 v11, v15, 3, v12
	v_and_or_b32 v10, v10, 7, v11
	s_and_b64 s[0:1], vcc, s[0:1]
	v_cndmask_b32_e64 v10, v10, 0, s[0:1]
.LBB25_100:                             ;   in Loop: Header=BB25_32 Depth=1
	s_or_b64 exec, exec, s[16:17]
.LBB25_101:                             ;   in Loop: Header=BB25_32 Depth=1
	s_andn2_saveexec_b64 s[0:1], s[14:15]
	s_or_b64 exec, exec, s[0:1]
.LBB25_102:                             ;   in Loop: Header=BB25_32 Depth=1
	s_andn2_saveexec_b64 s[0:1], s[12:13]
	s_or_b64 exec, exec, s[0:1]
	v_add_u32_e32 v11, 6, v21
	global_store_byte v11, v10, s[2:3]
	v_and_b32_e32 v10, 0xffff0000, v17
	v_mul_f32_e32 v10, v1, v10
	v_bfe_u32 v11, v10, 16, 1
	v_add3_u32 v11, v10, v11, s24
	v_and_b32_e32 v11, 0xffff0000, v11
	v_cmp_o_f32_e32 vcc, v10, v10
	v_cndmask_b32_e32 v10, v25, v11, vcc
	v_and_b32_e32 v11, 0xffff0000, v13
	v_mul_f32_e32 v10, v10, v11
	v_bfe_u32 v11, v10, 16, 1
	v_add3_u32 v11, v10, v11, s24
	v_and_b32_e32 v11, 0xffff0000, v11
	v_cmp_o_f32_e32 vcc, v10, v10
	v_cndmask_b32_e32 v10, v25, v11, vcc
	v_mul_f32_e32 v10, v24, v10
	v_min_f32_e32 v10, 0x43600000, v10
	v_max_f32_e32 v12, 0xc3600000, v10
	v_and_b32_e32 v18, 0x7f800000, v12
	v_or_b32_sdwa v10, v12, s25 dst_sel:DWORD dst_unused:UNUSED_PAD src0_sel:BYTE_3 src1_sel:DWORD
	v_cmp_ne_u64_e32 vcc, s[6:7], v[18:19]
	s_and_saveexec_b64 s[0:1], vcc
	s_xor_b64 s[12:13], exec, s[0:1]
	s_cbranch_execz .LBB25_112
; %bb.103:                              ;   in Loop: Header=BB25_32 Depth=1
	v_and_b32_e32 v18, 0x7fffffff, v12
	v_cmp_gt_u64_e32 vcc, s[10:11], v[18:19]
	s_and_saveexec_b64 s[0:1], vcc
	s_xor_b64 s[14:15], exec, s[0:1]
	s_cbranch_execz .LBB25_111
; %bb.104:                              ;   in Loop: Header=BB25_32 Depth=1
	v_cmp_ne_u32_e32 vcc, 0, v12
	v_mov_b32_e32 v10, 0
	s_and_saveexec_b64 s[16:17], vcc
	s_cbranch_execz .LBB25_110
; %bb.105:                              ;   in Loop: Header=BB25_32 Depth=1
	v_bfe_u32 v11, v12, 23, 8
	v_and_b32_e32 v10, 0x7fffff, v12
	v_sub_u32_e64 v13, s26, v11 clamp
	v_cmp_eq_u32_e32 vcc, 0, v11
	v_or_b32_e32 v14, 0x800000, v10
	v_cndmask_b32_e32 v13, v13, v26, vcc
	v_cndmask_b32_e32 v18, v14, v10, vcc
	v_add_u32_e32 v10, 20, v13
	v_add_u32_e32 v16, 0xffffff89, v11
	v_lshlrev_b64 v[10:11], v10, -1
	v_not_b32_e32 v10, v10
	v_add_u32_e32 v14, 19, v13
	v_and_b32_e32 v10, v18, v10
	v_mov_b32_e32 v11, v19
	v_lshlrev_b64 v[14:15], v14, 1
	v_cmp_eq_u64_e64 s[0:1], v[10:11], v[14:15]
	v_lshrrev_b64 v[10:11], v13, v[18:19]
	v_and_b32_e32 v18, 0x100000, v10
	v_cndmask_b32_e32 v14, v16, v27, vcc
	v_cmp_eq_u64_e32 vcc, 0, v[18:19]
	v_lshrrev_b32_e32 v15, 23, v10
	s_and_b64 vcc, vcc, s[0:1]
	v_add3_u32 v14, v14, v13, v15
	v_subbrev_co_u32_e32 v13, vcc, 0, v10, vcc
	v_and_b32_e32 v13, 0xfffff, v13
	v_add_co_u32_e32 v10, vcc, v13, v10
	v_add_u32_e32 v15, -1, v14
	v_addc_co_u32_e32 v11, vcc, 0, v11, vcc
	v_cmp_ne_u32_e32 vcc, 0, v15
                                        ; implicit-def: $vgpr13
	s_and_saveexec_b64 s[0:1], vcc
	s_xor_b64 s[0:1], exec, s[0:1]
; %bb.106:                              ;   in Loop: Header=BB25_32 Depth=1
	v_and_b32_e32 v18, 0x1000000, v10
	v_cmp_eq_u64_e32 vcc, 0, v[18:19]
	v_cndmask_b32_e32 v13, v14, v15, vcc
	v_bfe_u32 v14, v10, 24, 1
	v_lshrrev_b64 v[10:11], v14, v[10:11]
; %bb.107:                              ;   in Loop: Header=BB25_32 Depth=1
	s_andn2_saveexec_b64 s[0:1], s[0:1]
; %bb.108:                              ;   in Loop: Header=BB25_32 Depth=1
	v_bfe_u32 v13, v10, 23, 1
; %bb.109:                              ;   in Loop: Header=BB25_32 Depth=1
	s_or_b64 exec, exec, s[0:1]
	v_lshrrev_b64 v[10:11], 20, v[10:11]
	v_cmp_gt_i32_e32 vcc, 16, v13
	v_and_b32_sdwa v12, v12, s27 dst_sel:DWORD dst_unused:UNUSED_PAD src0_sel:BYTE_3 src1_sel:DWORD
	v_min_i32_e32 v14, 15, v13
	v_cndmask_b32_e32 v11, 0, v11, vcc
	v_cndmask_b32_e32 v10, 7, v10, vcc
	v_cmp_eq_u32_e32 vcc, 0, v13
	v_cmp_eq_u64_e64 s[0:1], 0, v[10:11]
	v_lshl_or_b32 v11, v14, 3, v12
	v_and_or_b32 v10, v10, 7, v11
	s_and_b64 s[0:1], vcc, s[0:1]
	v_cndmask_b32_e64 v10, v10, 0, s[0:1]
.LBB25_110:                             ;   in Loop: Header=BB25_32 Depth=1
	s_or_b64 exec, exec, s[16:17]
.LBB25_111:                             ;   in Loop: Header=BB25_32 Depth=1
	s_andn2_saveexec_b64 s[0:1], s[14:15]
	s_or_b64 exec, exec, s[0:1]
.LBB25_112:                             ;   in Loop: Header=BB25_32 Depth=1
	s_andn2_saveexec_b64 s[0:1], s[12:13]
	s_or_b64 exec, exec, s[0:1]
	v_add_u32_e32 v11, 7, v21
	global_store_byte v11, v10, s[2:3]
	s_waitcnt vmcnt(9)
	v_lshlrev_b32_e32 v10, 16, v6
	v_mul_f32_e32 v10, v1, v10
	v_bfe_u32 v11, v10, 16, 1
	v_add3_u32 v11, v10, v11, s24
	v_and_b32_e32 v11, 0xffff0000, v11
	v_cmp_o_f32_e32 vcc, v10, v10
	v_cndmask_b32_e32 v10, v25, v11, vcc
	s_waitcnt vmcnt(8)
	v_lshlrev_b32_e32 v11, 16, v2
	v_mul_f32_e32 v10, v10, v11
	v_bfe_u32 v11, v10, 16, 1
	v_add3_u32 v11, v10, v11, s24
	v_and_b32_e32 v11, 0xffff0000, v11
	v_cmp_o_f32_e32 vcc, v10, v10
	v_cndmask_b32_e32 v10, v25, v11, vcc
	v_mul_f32_e32 v10, v24, v10
	v_min_f32_e32 v10, 0x43600000, v10
	v_max_f32_e32 v12, 0xc3600000, v10
	v_and_b32_e32 v18, 0x7f800000, v12
	v_or_b32_sdwa v10, v12, s25 dst_sel:DWORD dst_unused:UNUSED_PAD src0_sel:BYTE_3 src1_sel:DWORD
	v_cmp_ne_u64_e32 vcc, s[6:7], v[18:19]
	s_and_saveexec_b64 s[0:1], vcc
	s_xor_b64 s[12:13], exec, s[0:1]
	s_cbranch_execz .LBB25_122
; %bb.113:                              ;   in Loop: Header=BB25_32 Depth=1
	v_and_b32_e32 v18, 0x7fffffff, v12
	v_cmp_gt_u64_e32 vcc, s[10:11], v[18:19]
	s_and_saveexec_b64 s[0:1], vcc
	s_xor_b64 s[14:15], exec, s[0:1]
	s_cbranch_execz .LBB25_121
; %bb.114:                              ;   in Loop: Header=BB25_32 Depth=1
	v_cmp_ne_u32_e32 vcc, 0, v12
	v_mov_b32_e32 v10, 0
	s_and_saveexec_b64 s[16:17], vcc
	s_cbranch_execz .LBB25_120
; %bb.115:                              ;   in Loop: Header=BB25_32 Depth=1
	v_bfe_u32 v11, v12, 23, 8
	v_and_b32_e32 v10, 0x7fffff, v12
	v_sub_u32_e64 v13, s26, v11 clamp
	v_cmp_eq_u32_e32 vcc, 0, v11
	v_or_b32_e32 v14, 0x800000, v10
	v_cndmask_b32_e32 v13, v13, v26, vcc
	v_cndmask_b32_e32 v18, v14, v10, vcc
	v_add_u32_e32 v10, 20, v13
	v_add_u32_e32 v16, 0xffffff89, v11
	v_lshlrev_b64 v[10:11], v10, -1
	v_not_b32_e32 v10, v10
	v_add_u32_e32 v14, 19, v13
	v_and_b32_e32 v10, v18, v10
	v_mov_b32_e32 v11, v19
	v_lshlrev_b64 v[14:15], v14, 1
	v_cmp_eq_u64_e64 s[0:1], v[10:11], v[14:15]
	v_lshrrev_b64 v[10:11], v13, v[18:19]
	v_and_b32_e32 v18, 0x100000, v10
	v_cndmask_b32_e32 v14, v16, v27, vcc
	v_cmp_eq_u64_e32 vcc, 0, v[18:19]
	v_lshrrev_b32_e32 v15, 23, v10
	s_and_b64 vcc, vcc, s[0:1]
	v_add3_u32 v14, v14, v13, v15
	v_subbrev_co_u32_e32 v13, vcc, 0, v10, vcc
	v_and_b32_e32 v13, 0xfffff, v13
	v_add_co_u32_e32 v10, vcc, v13, v10
	v_add_u32_e32 v15, -1, v14
	v_addc_co_u32_e32 v11, vcc, 0, v11, vcc
	v_cmp_ne_u32_e32 vcc, 0, v15
                                        ; implicit-def: $vgpr13
	s_and_saveexec_b64 s[0:1], vcc
	s_xor_b64 s[0:1], exec, s[0:1]
; %bb.116:                              ;   in Loop: Header=BB25_32 Depth=1
	v_and_b32_e32 v18, 0x1000000, v10
	v_cmp_eq_u64_e32 vcc, 0, v[18:19]
	v_cndmask_b32_e32 v13, v14, v15, vcc
	v_bfe_u32 v14, v10, 24, 1
	v_lshrrev_b64 v[10:11], v14, v[10:11]
; %bb.117:                              ;   in Loop: Header=BB25_32 Depth=1
	s_andn2_saveexec_b64 s[0:1], s[0:1]
; %bb.118:                              ;   in Loop: Header=BB25_32 Depth=1
	v_bfe_u32 v13, v10, 23, 1
; %bb.119:                              ;   in Loop: Header=BB25_32 Depth=1
	s_or_b64 exec, exec, s[0:1]
	v_lshrrev_b64 v[10:11], 20, v[10:11]
	v_cmp_gt_i32_e32 vcc, 16, v13
	v_and_b32_sdwa v12, v12, s27 dst_sel:DWORD dst_unused:UNUSED_PAD src0_sel:BYTE_3 src1_sel:DWORD
	v_min_i32_e32 v14, 15, v13
	v_cndmask_b32_e32 v11, 0, v11, vcc
	v_cndmask_b32_e32 v10, 7, v10, vcc
	v_cmp_eq_u32_e32 vcc, 0, v13
	v_cmp_eq_u64_e64 s[0:1], 0, v[10:11]
	v_lshl_or_b32 v11, v14, 3, v12
	v_and_or_b32 v10, v10, 7, v11
	s_and_b64 s[0:1], vcc, s[0:1]
	v_cndmask_b32_e64 v10, v10, 0, s[0:1]
.LBB25_120:                             ;   in Loop: Header=BB25_32 Depth=1
	s_or_b64 exec, exec, s[16:17]
.LBB25_121:                             ;   in Loop: Header=BB25_32 Depth=1
	s_andn2_saveexec_b64 s[0:1], s[14:15]
	s_or_b64 exec, exec, s[0:1]
.LBB25_122:                             ;   in Loop: Header=BB25_32 Depth=1
	s_andn2_saveexec_b64 s[0:1], s[12:13]
	s_or_b64 exec, exec, s[0:1]
	v_and_b32_e32 v6, 0xffff0000, v6
	v_add_u32_e32 v11, 8, v21
	v_mul_f32_e32 v6, v1, v6
	global_store_byte v11, v10, s[2:3]
	v_bfe_u32 v10, v6, 16, 1
	v_add3_u32 v10, v6, v10, s24
	v_and_b32_e32 v10, 0xffff0000, v10
	v_cmp_o_f32_e32 vcc, v6, v6
	v_cndmask_b32_e32 v6, v25, v10, vcc
	v_and_b32_e32 v2, 0xffff0000, v2
	v_mul_f32_e32 v2, v6, v2
	v_bfe_u32 v6, v2, 16, 1
	v_add3_u32 v6, v2, v6, s24
	v_and_b32_e32 v6, 0xffff0000, v6
	v_cmp_o_f32_e32 vcc, v2, v2
	v_cndmask_b32_e32 v2, v25, v6, vcc
	v_mul_f32_e32 v2, v24, v2
	v_min_f32_e32 v2, 0x43600000, v2
	v_max_f32_e32 v2, 0xc3600000, v2
	v_and_b32_e32 v18, 0x7f800000, v2
	v_or_b32_sdwa v6, v2, s25 dst_sel:DWORD dst_unused:UNUSED_PAD src0_sel:BYTE_3 src1_sel:DWORD
	v_cmp_ne_u64_e32 vcc, s[6:7], v[18:19]
	s_and_saveexec_b64 s[0:1], vcc
	s_xor_b64 s[12:13], exec, s[0:1]
	s_cbranch_execz .LBB25_132
; %bb.123:                              ;   in Loop: Header=BB25_32 Depth=1
	v_and_b32_e32 v18, 0x7fffffff, v2
	v_cmp_gt_u64_e32 vcc, s[10:11], v[18:19]
	s_and_saveexec_b64 s[0:1], vcc
	s_xor_b64 s[14:15], exec, s[0:1]
	s_cbranch_execz .LBB25_131
; %bb.124:                              ;   in Loop: Header=BB25_32 Depth=1
	v_cmp_ne_u32_e32 vcc, 0, v2
	v_mov_b32_e32 v6, 0
	s_and_saveexec_b64 s[16:17], vcc
	s_cbranch_execz .LBB25_130
; %bb.125:                              ;   in Loop: Header=BB25_32 Depth=1
	v_bfe_u32 v10, v2, 23, 8
	v_and_b32_e32 v6, 0x7fffff, v2
	v_sub_u32_e64 v11, s26, v10 clamp
	v_cmp_eq_u32_e32 vcc, 0, v10
	v_or_b32_e32 v12, 0x800000, v6
	v_cndmask_b32_e32 v15, v11, v26, vcc
	v_cndmask_b32_e32 v18, v12, v6, vcc
	v_add_u32_e32 v6, 20, v15
	v_add_u32_e32 v14, 0xffffff89, v10
	v_lshlrev_b64 v[10:11], v6, -1
	v_not_b32_e32 v6, v10
	v_and_b32_e32 v10, v18, v6
	v_add_u32_e32 v6, 19, v15
	v_mov_b32_e32 v11, v19
	v_lshlrev_b64 v[12:13], v6, 1
	v_cmp_eq_u64_e64 s[0:1], v[10:11], v[12:13]
	v_lshrrev_b64 v[10:11], v15, v[18:19]
	v_and_b32_e32 v18, 0x100000, v10
	v_cndmask_b32_e32 v6, v14, v27, vcc
	v_cmp_eq_u64_e32 vcc, 0, v[18:19]
	v_lshrrev_b32_e32 v12, 23, v10
	s_and_b64 vcc, vcc, s[0:1]
	v_add3_u32 v12, v6, v15, v12
	v_subbrev_co_u32_e32 v6, vcc, 0, v10, vcc
	v_and_b32_e32 v6, 0xfffff, v6
	v_add_co_u32_e32 v10, vcc, v6, v10
	v_add_u32_e32 v13, -1, v12
	v_addc_co_u32_e32 v11, vcc, 0, v11, vcc
	v_cmp_ne_u32_e32 vcc, 0, v13
                                        ; implicit-def: $vgpr6
	s_and_saveexec_b64 s[0:1], vcc
	s_xor_b64 s[0:1], exec, s[0:1]
; %bb.126:                              ;   in Loop: Header=BB25_32 Depth=1
	v_and_b32_e32 v18, 0x1000000, v10
	v_cmp_eq_u64_e32 vcc, 0, v[18:19]
	v_cndmask_b32_e32 v6, v12, v13, vcc
	v_bfe_u32 v12, v10, 24, 1
	v_lshrrev_b64 v[10:11], v12, v[10:11]
; %bb.127:                              ;   in Loop: Header=BB25_32 Depth=1
	s_andn2_saveexec_b64 s[0:1], s[0:1]
; %bb.128:                              ;   in Loop: Header=BB25_32 Depth=1
	v_bfe_u32 v6, v10, 23, 1
; %bb.129:                              ;   in Loop: Header=BB25_32 Depth=1
	s_or_b64 exec, exec, s[0:1]
	v_lshrrev_b64 v[10:11], 20, v[10:11]
	v_cmp_gt_i32_e32 vcc, 16, v6
	v_and_b32_sdwa v2, v2, s27 dst_sel:DWORD dst_unused:UNUSED_PAD src0_sel:BYTE_3 src1_sel:DWORD
	v_min_i32_e32 v12, 15, v6
	v_cndmask_b32_e32 v11, 0, v11, vcc
	v_cndmask_b32_e32 v10, 7, v10, vcc
	v_cmp_eq_u32_e32 vcc, 0, v6
	v_cmp_eq_u64_e64 s[0:1], 0, v[10:11]
	v_lshl_or_b32 v2, v12, 3, v2
	v_and_or_b32 v2, v10, 7, v2
	s_and_b64 s[0:1], vcc, s[0:1]
	v_cndmask_b32_e64 v6, v2, 0, s[0:1]
.LBB25_130:                             ;   in Loop: Header=BB25_32 Depth=1
	s_or_b64 exec, exec, s[16:17]
.LBB25_131:                             ;   in Loop: Header=BB25_32 Depth=1
	s_andn2_saveexec_b64 s[0:1], s[14:15]
	s_or_b64 exec, exec, s[0:1]
.LBB25_132:                             ;   in Loop: Header=BB25_32 Depth=1
	s_andn2_saveexec_b64 s[0:1], s[12:13]
	s_or_b64 exec, exec, s[0:1]
	v_add_u32_e32 v2, 9, v21
	global_store_byte v2, v6, s[2:3]
	v_lshlrev_b32_e32 v2, 16, v7
	v_mul_f32_e32 v2, v1, v2
	v_bfe_u32 v6, v2, 16, 1
	v_add3_u32 v6, v2, v6, s24
	v_and_b32_e32 v6, 0xffff0000, v6
	v_cmp_o_f32_e32 vcc, v2, v2
	v_cndmask_b32_e32 v2, v25, v6, vcc
	v_lshlrev_b32_e32 v6, 16, v3
	v_mul_f32_e32 v2, v2, v6
	v_bfe_u32 v6, v2, 16, 1
	v_add3_u32 v6, v2, v6, s24
	v_and_b32_e32 v6, 0xffff0000, v6
	v_cmp_o_f32_e32 vcc, v2, v2
	v_cndmask_b32_e32 v2, v25, v6, vcc
	v_mul_f32_e32 v2, v24, v2
	v_min_f32_e32 v2, 0x43600000, v2
	v_max_f32_e32 v2, 0xc3600000, v2
	v_and_b32_e32 v18, 0x7f800000, v2
	v_or_b32_sdwa v6, v2, s25 dst_sel:DWORD dst_unused:UNUSED_PAD src0_sel:BYTE_3 src1_sel:DWORD
	v_cmp_ne_u64_e32 vcc, s[6:7], v[18:19]
	s_and_saveexec_b64 s[0:1], vcc
	s_xor_b64 s[12:13], exec, s[0:1]
	s_cbranch_execz .LBB25_142
; %bb.133:                              ;   in Loop: Header=BB25_32 Depth=1
	v_and_b32_e32 v18, 0x7fffffff, v2
	v_cmp_gt_u64_e32 vcc, s[10:11], v[18:19]
	s_and_saveexec_b64 s[0:1], vcc
	s_xor_b64 s[14:15], exec, s[0:1]
	s_cbranch_execz .LBB25_141
; %bb.134:                              ;   in Loop: Header=BB25_32 Depth=1
	v_cmp_ne_u32_e32 vcc, 0, v2
	v_mov_b32_e32 v6, 0
	s_and_saveexec_b64 s[16:17], vcc
	s_cbranch_execz .LBB25_140
; %bb.135:                              ;   in Loop: Header=BB25_32 Depth=1
	v_bfe_u32 v10, v2, 23, 8
	v_and_b32_e32 v6, 0x7fffff, v2
	v_sub_u32_e64 v11, s26, v10 clamp
	v_cmp_eq_u32_e32 vcc, 0, v10
	v_or_b32_e32 v12, 0x800000, v6
	v_cndmask_b32_e32 v15, v11, v26, vcc
	v_cndmask_b32_e32 v18, v12, v6, vcc
	v_add_u32_e32 v6, 20, v15
	v_add_u32_e32 v14, 0xffffff89, v10
	v_lshlrev_b64 v[10:11], v6, -1
	v_not_b32_e32 v6, v10
	v_and_b32_e32 v10, v18, v6
	v_add_u32_e32 v6, 19, v15
	v_mov_b32_e32 v11, v19
	v_lshlrev_b64 v[12:13], v6, 1
	v_cmp_eq_u64_e64 s[0:1], v[10:11], v[12:13]
	v_lshrrev_b64 v[10:11], v15, v[18:19]
	v_and_b32_e32 v18, 0x100000, v10
	v_cndmask_b32_e32 v6, v14, v27, vcc
	v_cmp_eq_u64_e32 vcc, 0, v[18:19]
	v_lshrrev_b32_e32 v12, 23, v10
	s_and_b64 vcc, vcc, s[0:1]
	v_add3_u32 v12, v6, v15, v12
	v_subbrev_co_u32_e32 v6, vcc, 0, v10, vcc
	v_and_b32_e32 v6, 0xfffff, v6
	v_add_co_u32_e32 v10, vcc, v6, v10
	v_add_u32_e32 v13, -1, v12
	v_addc_co_u32_e32 v11, vcc, 0, v11, vcc
	v_cmp_ne_u32_e32 vcc, 0, v13
                                        ; implicit-def: $vgpr6
	s_and_saveexec_b64 s[0:1], vcc
	s_xor_b64 s[0:1], exec, s[0:1]
; %bb.136:                              ;   in Loop: Header=BB25_32 Depth=1
	v_and_b32_e32 v18, 0x1000000, v10
	v_cmp_eq_u64_e32 vcc, 0, v[18:19]
	v_cndmask_b32_e32 v6, v12, v13, vcc
	v_bfe_u32 v12, v10, 24, 1
	v_lshrrev_b64 v[10:11], v12, v[10:11]
; %bb.137:                              ;   in Loop: Header=BB25_32 Depth=1
	s_andn2_saveexec_b64 s[0:1], s[0:1]
; %bb.138:                              ;   in Loop: Header=BB25_32 Depth=1
	v_bfe_u32 v6, v10, 23, 1
; %bb.139:                              ;   in Loop: Header=BB25_32 Depth=1
	s_or_b64 exec, exec, s[0:1]
	v_lshrrev_b64 v[10:11], 20, v[10:11]
	v_cmp_gt_i32_e32 vcc, 16, v6
	v_and_b32_sdwa v2, v2, s27 dst_sel:DWORD dst_unused:UNUSED_PAD src0_sel:BYTE_3 src1_sel:DWORD
	v_min_i32_e32 v12, 15, v6
	v_cndmask_b32_e32 v11, 0, v11, vcc
	v_cndmask_b32_e32 v10, 7, v10, vcc
	v_cmp_eq_u32_e32 vcc, 0, v6
	v_cmp_eq_u64_e64 s[0:1], 0, v[10:11]
	v_lshl_or_b32 v2, v12, 3, v2
	v_and_or_b32 v2, v10, 7, v2
	s_and_b64 s[0:1], vcc, s[0:1]
	v_cndmask_b32_e64 v6, v2, 0, s[0:1]
.LBB25_140:                             ;   in Loop: Header=BB25_32 Depth=1
	s_or_b64 exec, exec, s[16:17]
.LBB25_141:                             ;   in Loop: Header=BB25_32 Depth=1
	s_andn2_saveexec_b64 s[0:1], s[14:15]
	s_or_b64 exec, exec, s[0:1]
.LBB25_142:                             ;   in Loop: Header=BB25_32 Depth=1
	s_andn2_saveexec_b64 s[0:1], s[12:13]
	s_or_b64 exec, exec, s[0:1]
	v_add_u32_e32 v2, 10, v21
	global_store_byte v2, v6, s[2:3]
	v_and_b32_e32 v2, 0xffff0000, v7
	v_mul_f32_e32 v2, v1, v2
	v_bfe_u32 v6, v2, 16, 1
	v_add3_u32 v6, v2, v6, s24
	v_and_b32_e32 v6, 0xffff0000, v6
	v_cmp_o_f32_e32 vcc, v2, v2
	v_cndmask_b32_e32 v2, v25, v6, vcc
	v_and_b32_e32 v3, 0xffff0000, v3
	v_mul_f32_e32 v2, v2, v3
	v_bfe_u32 v3, v2, 16, 1
	v_add3_u32 v3, v2, v3, s24
	v_and_b32_e32 v3, 0xffff0000, v3
	v_cmp_o_f32_e32 vcc, v2, v2
	v_cndmask_b32_e32 v2, v25, v3, vcc
	v_mul_f32_e32 v2, v24, v2
	v_min_f32_e32 v2, 0x43600000, v2
	v_max_f32_e32 v6, 0xc3600000, v2
	v_and_b32_e32 v18, 0x7f800000, v6
	v_or_b32_sdwa v2, v6, s25 dst_sel:DWORD dst_unused:UNUSED_PAD src0_sel:BYTE_3 src1_sel:DWORD
	v_cmp_ne_u64_e32 vcc, s[6:7], v[18:19]
	s_and_saveexec_b64 s[0:1], vcc
	s_xor_b64 s[12:13], exec, s[0:1]
	s_cbranch_execz .LBB25_152
; %bb.143:                              ;   in Loop: Header=BB25_32 Depth=1
	v_and_b32_e32 v18, 0x7fffffff, v6
	v_cmp_gt_u64_e32 vcc, s[10:11], v[18:19]
	s_and_saveexec_b64 s[0:1], vcc
	s_xor_b64 s[14:15], exec, s[0:1]
	s_cbranch_execz .LBB25_151
; %bb.144:                              ;   in Loop: Header=BB25_32 Depth=1
	v_cmp_ne_u32_e32 vcc, 0, v6
	v_mov_b32_e32 v2, 0
	s_and_saveexec_b64 s[16:17], vcc
	s_cbranch_execz .LBB25_150
; %bb.145:                              ;   in Loop: Header=BB25_32 Depth=1
	v_bfe_u32 v3, v6, 23, 8
	v_and_b32_e32 v2, 0x7fffff, v6
	v_sub_u32_e64 v7, s26, v3 clamp
	v_cmp_eq_u32_e32 vcc, 0, v3
	v_or_b32_e32 v10, 0x800000, v2
	v_cndmask_b32_e32 v7, v7, v26, vcc
	v_cndmask_b32_e32 v18, v10, v2, vcc
	v_add_u32_e32 v2, 20, v7
	v_add_u32_e32 v12, 0xffffff89, v3
	v_lshlrev_b64 v[2:3], v2, -1
	v_not_b32_e32 v2, v2
	v_add_u32_e32 v10, 19, v7
	v_and_b32_e32 v2, v18, v2
	v_mov_b32_e32 v3, v19
	v_lshlrev_b64 v[10:11], v10, 1
	v_cmp_eq_u64_e64 s[0:1], v[2:3], v[10:11]
	v_lshrrev_b64 v[2:3], v7, v[18:19]
	v_and_b32_e32 v18, 0x100000, v2
	v_cndmask_b32_e32 v10, v12, v27, vcc
	v_cmp_eq_u64_e32 vcc, 0, v[18:19]
	v_lshrrev_b32_e32 v11, 23, v2
	s_and_b64 vcc, vcc, s[0:1]
	v_add3_u32 v10, v10, v7, v11
	v_subbrev_co_u32_e32 v7, vcc, 0, v2, vcc
	v_and_b32_e32 v7, 0xfffff, v7
	v_add_co_u32_e32 v2, vcc, v7, v2
	v_add_u32_e32 v11, -1, v10
	v_addc_co_u32_e32 v3, vcc, 0, v3, vcc
	v_cmp_ne_u32_e32 vcc, 0, v11
                                        ; implicit-def: $vgpr7
	s_and_saveexec_b64 s[0:1], vcc
	s_xor_b64 s[0:1], exec, s[0:1]
; %bb.146:                              ;   in Loop: Header=BB25_32 Depth=1
	v_and_b32_e32 v18, 0x1000000, v2
	v_cmp_eq_u64_e32 vcc, 0, v[18:19]
	v_cndmask_b32_e32 v7, v10, v11, vcc
	v_bfe_u32 v10, v2, 24, 1
	v_lshrrev_b64 v[2:3], v10, v[2:3]
; %bb.147:                              ;   in Loop: Header=BB25_32 Depth=1
	s_andn2_saveexec_b64 s[0:1], s[0:1]
; %bb.148:                              ;   in Loop: Header=BB25_32 Depth=1
	v_bfe_u32 v7, v2, 23, 1
; %bb.149:                              ;   in Loop: Header=BB25_32 Depth=1
	s_or_b64 exec, exec, s[0:1]
	v_lshrrev_b64 v[2:3], 20, v[2:3]
	v_cmp_gt_i32_e32 vcc, 16, v7
	v_and_b32_sdwa v6, v6, s27 dst_sel:DWORD dst_unused:UNUSED_PAD src0_sel:BYTE_3 src1_sel:DWORD
	v_min_i32_e32 v10, 15, v7
	v_cndmask_b32_e32 v3, 0, v3, vcc
	v_cndmask_b32_e32 v2, 7, v2, vcc
	v_cmp_eq_u32_e32 vcc, 0, v7
	v_cmp_eq_u64_e64 s[0:1], 0, v[2:3]
	v_lshl_or_b32 v3, v10, 3, v6
	v_and_or_b32 v2, v2, 7, v3
	s_and_b64 s[0:1], vcc, s[0:1]
	v_cndmask_b32_e64 v2, v2, 0, s[0:1]
.LBB25_150:                             ;   in Loop: Header=BB25_32 Depth=1
	s_or_b64 exec, exec, s[16:17]
.LBB25_151:                             ;   in Loop: Header=BB25_32 Depth=1
	s_andn2_saveexec_b64 s[0:1], s[14:15]
	s_or_b64 exec, exec, s[0:1]
.LBB25_152:                             ;   in Loop: Header=BB25_32 Depth=1
	s_andn2_saveexec_b64 s[0:1], s[12:13]
	s_or_b64 exec, exec, s[0:1]
	v_add_u32_e32 v3, 11, v21
	global_store_byte v3, v2, s[2:3]
	v_lshlrev_b32_e32 v2, 16, v8
	v_mul_f32_e32 v2, v1, v2
	v_bfe_u32 v3, v2, 16, 1
	v_add3_u32 v3, v2, v3, s24
	v_and_b32_e32 v3, 0xffff0000, v3
	v_cmp_o_f32_e32 vcc, v2, v2
	v_cndmask_b32_e32 v2, v25, v3, vcc
	v_lshlrev_b32_e32 v3, 16, v4
	v_mul_f32_e32 v2, v2, v3
	v_bfe_u32 v3, v2, 16, 1
	v_add3_u32 v3, v2, v3, s24
	v_and_b32_e32 v3, 0xffff0000, v3
	v_cmp_o_f32_e32 vcc, v2, v2
	v_cndmask_b32_e32 v2, v25, v3, vcc
	v_mul_f32_e32 v2, v24, v2
	v_min_f32_e32 v2, 0x43600000, v2
	v_max_f32_e32 v6, 0xc3600000, v2
	v_and_b32_e32 v18, 0x7f800000, v6
	v_or_b32_sdwa v2, v6, s25 dst_sel:DWORD dst_unused:UNUSED_PAD src0_sel:BYTE_3 src1_sel:DWORD
	v_cmp_ne_u64_e32 vcc, s[6:7], v[18:19]
	s_and_saveexec_b64 s[0:1], vcc
	s_xor_b64 s[12:13], exec, s[0:1]
	s_cbranch_execz .LBB25_162
; %bb.153:                              ;   in Loop: Header=BB25_32 Depth=1
	v_and_b32_e32 v18, 0x7fffffff, v6
	v_cmp_gt_u64_e32 vcc, s[10:11], v[18:19]
	s_and_saveexec_b64 s[0:1], vcc
	s_xor_b64 s[14:15], exec, s[0:1]
	s_cbranch_execz .LBB25_161
; %bb.154:                              ;   in Loop: Header=BB25_32 Depth=1
	v_cmp_ne_u32_e32 vcc, 0, v6
	v_mov_b32_e32 v2, 0
	s_and_saveexec_b64 s[16:17], vcc
	s_cbranch_execz .LBB25_160
; %bb.155:                              ;   in Loop: Header=BB25_32 Depth=1
	v_bfe_u32 v3, v6, 23, 8
	v_and_b32_e32 v2, 0x7fffff, v6
	v_sub_u32_e64 v7, s26, v3 clamp
	v_cmp_eq_u32_e32 vcc, 0, v3
	v_or_b32_e32 v10, 0x800000, v2
	v_cndmask_b32_e32 v7, v7, v26, vcc
	v_cndmask_b32_e32 v18, v10, v2, vcc
	v_add_u32_e32 v2, 20, v7
	v_add_u32_e32 v12, 0xffffff89, v3
	v_lshlrev_b64 v[2:3], v2, -1
	v_not_b32_e32 v2, v2
	v_add_u32_e32 v10, 19, v7
	v_and_b32_e32 v2, v18, v2
	v_mov_b32_e32 v3, v19
	v_lshlrev_b64 v[10:11], v10, 1
	v_cmp_eq_u64_e64 s[0:1], v[2:3], v[10:11]
	v_lshrrev_b64 v[2:3], v7, v[18:19]
	v_and_b32_e32 v18, 0x100000, v2
	v_cndmask_b32_e32 v10, v12, v27, vcc
	v_cmp_eq_u64_e32 vcc, 0, v[18:19]
	v_lshrrev_b32_e32 v11, 23, v2
	s_and_b64 vcc, vcc, s[0:1]
	v_add3_u32 v10, v10, v7, v11
	v_subbrev_co_u32_e32 v7, vcc, 0, v2, vcc
	v_and_b32_e32 v7, 0xfffff, v7
	v_add_co_u32_e32 v2, vcc, v7, v2
	v_add_u32_e32 v11, -1, v10
	v_addc_co_u32_e32 v3, vcc, 0, v3, vcc
	v_cmp_ne_u32_e32 vcc, 0, v11
                                        ; implicit-def: $vgpr7
	s_and_saveexec_b64 s[0:1], vcc
	s_xor_b64 s[0:1], exec, s[0:1]
; %bb.156:                              ;   in Loop: Header=BB25_32 Depth=1
	v_and_b32_e32 v18, 0x1000000, v2
	v_cmp_eq_u64_e32 vcc, 0, v[18:19]
	v_cndmask_b32_e32 v7, v10, v11, vcc
	v_bfe_u32 v10, v2, 24, 1
	v_lshrrev_b64 v[2:3], v10, v[2:3]
; %bb.157:                              ;   in Loop: Header=BB25_32 Depth=1
	s_andn2_saveexec_b64 s[0:1], s[0:1]
; %bb.158:                              ;   in Loop: Header=BB25_32 Depth=1
	v_bfe_u32 v7, v2, 23, 1
; %bb.159:                              ;   in Loop: Header=BB25_32 Depth=1
	s_or_b64 exec, exec, s[0:1]
	v_lshrrev_b64 v[2:3], 20, v[2:3]
	v_cmp_gt_i32_e32 vcc, 16, v7
	v_and_b32_sdwa v6, v6, s27 dst_sel:DWORD dst_unused:UNUSED_PAD src0_sel:BYTE_3 src1_sel:DWORD
	v_min_i32_e32 v10, 15, v7
	v_cndmask_b32_e32 v3, 0, v3, vcc
	v_cndmask_b32_e32 v2, 7, v2, vcc
	v_cmp_eq_u32_e32 vcc, 0, v7
	v_cmp_eq_u64_e64 s[0:1], 0, v[2:3]
	v_lshl_or_b32 v3, v10, 3, v6
	v_and_or_b32 v2, v2, 7, v3
	s_and_b64 s[0:1], vcc, s[0:1]
	v_cndmask_b32_e64 v2, v2, 0, s[0:1]
.LBB25_160:                             ;   in Loop: Header=BB25_32 Depth=1
	s_or_b64 exec, exec, s[16:17]
.LBB25_161:                             ;   in Loop: Header=BB25_32 Depth=1
	s_andn2_saveexec_b64 s[0:1], s[14:15]
	s_or_b64 exec, exec, s[0:1]
.LBB25_162:                             ;   in Loop: Header=BB25_32 Depth=1
	s_andn2_saveexec_b64 s[0:1], s[12:13]
	s_or_b64 exec, exec, s[0:1]
	v_add_u32_e32 v3, 12, v21
	global_store_byte v3, v2, s[2:3]
	v_and_b32_e32 v2, 0xffff0000, v8
	v_mul_f32_e32 v2, v1, v2
	v_bfe_u32 v3, v2, 16, 1
	v_add3_u32 v3, v2, v3, s24
	v_and_b32_e32 v3, 0xffff0000, v3
	v_cmp_o_f32_e32 vcc, v2, v2
	v_cndmask_b32_e32 v2, v25, v3, vcc
	v_and_b32_e32 v3, 0xffff0000, v4
	v_mul_f32_e32 v2, v2, v3
	v_bfe_u32 v3, v2, 16, 1
	v_add3_u32 v3, v2, v3, s24
	v_and_b32_e32 v3, 0xffff0000, v3
	v_cmp_o_f32_e32 vcc, v2, v2
	v_cndmask_b32_e32 v2, v25, v3, vcc
	v_mul_f32_e32 v2, v24, v2
	v_min_f32_e32 v2, 0x43600000, v2
	v_max_f32_e32 v4, 0xc3600000, v2
	v_and_b32_e32 v18, 0x7f800000, v4
	v_or_b32_sdwa v2, v4, s25 dst_sel:DWORD dst_unused:UNUSED_PAD src0_sel:BYTE_3 src1_sel:DWORD
	v_cmp_ne_u64_e32 vcc, s[6:7], v[18:19]
	s_and_saveexec_b64 s[0:1], vcc
	s_xor_b64 s[12:13], exec, s[0:1]
	s_cbranch_execz .LBB25_172
; %bb.163:                              ;   in Loop: Header=BB25_32 Depth=1
	v_and_b32_e32 v18, 0x7fffffff, v4
	v_cmp_gt_u64_e32 vcc, s[10:11], v[18:19]
	s_and_saveexec_b64 s[0:1], vcc
	s_xor_b64 s[14:15], exec, s[0:1]
	s_cbranch_execz .LBB25_171
; %bb.164:                              ;   in Loop: Header=BB25_32 Depth=1
	v_cmp_ne_u32_e32 vcc, 0, v4
	v_mov_b32_e32 v2, 0
	s_and_saveexec_b64 s[16:17], vcc
	s_cbranch_execz .LBB25_170
; %bb.165:                              ;   in Loop: Header=BB25_32 Depth=1
	v_bfe_u32 v3, v4, 23, 8
	v_and_b32_e32 v2, 0x7fffff, v4
	v_sub_u32_e64 v6, s26, v3 clamp
	v_cmp_eq_u32_e32 vcc, 0, v3
	v_or_b32_e32 v7, 0x800000, v2
	v_cndmask_b32_e32 v10, v6, v26, vcc
	v_cndmask_b32_e32 v18, v7, v2, vcc
	v_add_u32_e32 v2, 20, v10
	v_add_u32_e32 v8, 0xffffff89, v3
	v_lshlrev_b64 v[2:3], v2, -1
	v_not_b32_e32 v2, v2
	v_add_u32_e32 v6, 19, v10
	v_and_b32_e32 v2, v18, v2
	v_mov_b32_e32 v3, v19
	v_lshlrev_b64 v[6:7], v6, 1
	v_cmp_eq_u64_e64 s[0:1], v[2:3], v[6:7]
	v_lshrrev_b64 v[2:3], v10, v[18:19]
	v_and_b32_e32 v18, 0x100000, v2
	v_cndmask_b32_e32 v6, v8, v27, vcc
	v_cmp_eq_u64_e32 vcc, 0, v[18:19]
	v_lshrrev_b32_e32 v7, 23, v2
	s_and_b64 vcc, vcc, s[0:1]
	v_add3_u32 v7, v6, v10, v7
	v_subbrev_co_u32_e32 v6, vcc, 0, v2, vcc
	v_and_b32_e32 v6, 0xfffff, v6
	v_add_co_u32_e32 v2, vcc, v6, v2
	v_add_u32_e32 v8, -1, v7
	v_addc_co_u32_e32 v3, vcc, 0, v3, vcc
	v_cmp_ne_u32_e32 vcc, 0, v8
                                        ; implicit-def: $vgpr6
	s_and_saveexec_b64 s[0:1], vcc
	s_xor_b64 s[0:1], exec, s[0:1]
; %bb.166:                              ;   in Loop: Header=BB25_32 Depth=1
	v_and_b32_e32 v18, 0x1000000, v2
	v_cmp_eq_u64_e32 vcc, 0, v[18:19]
	v_cndmask_b32_e32 v6, v7, v8, vcc
	v_bfe_u32 v7, v2, 24, 1
	v_lshrrev_b64 v[2:3], v7, v[2:3]
; %bb.167:                              ;   in Loop: Header=BB25_32 Depth=1
	s_andn2_saveexec_b64 s[0:1], s[0:1]
; %bb.168:                              ;   in Loop: Header=BB25_32 Depth=1
	v_bfe_u32 v6, v2, 23, 1
; %bb.169:                              ;   in Loop: Header=BB25_32 Depth=1
	s_or_b64 exec, exec, s[0:1]
	v_lshrrev_b64 v[2:3], 20, v[2:3]
	v_cmp_gt_i32_e32 vcc, 16, v6
	v_and_b32_sdwa v4, v4, s27 dst_sel:DWORD dst_unused:UNUSED_PAD src0_sel:BYTE_3 src1_sel:DWORD
	v_min_i32_e32 v7, 15, v6
	v_cndmask_b32_e32 v3, 0, v3, vcc
	v_cndmask_b32_e32 v2, 7, v2, vcc
	v_cmp_eq_u32_e32 vcc, 0, v6
	v_cmp_eq_u64_e64 s[0:1], 0, v[2:3]
	v_lshl_or_b32 v3, v7, 3, v4
	v_and_or_b32 v2, v2, 7, v3
	s_and_b64 s[0:1], vcc, s[0:1]
	v_cndmask_b32_e64 v2, v2, 0, s[0:1]
.LBB25_170:                             ;   in Loop: Header=BB25_32 Depth=1
	s_or_b64 exec, exec, s[16:17]
.LBB25_171:                             ;   in Loop: Header=BB25_32 Depth=1
	s_andn2_saveexec_b64 s[0:1], s[14:15]
	s_or_b64 exec, exec, s[0:1]
.LBB25_172:                             ;   in Loop: Header=BB25_32 Depth=1
	s_andn2_saveexec_b64 s[0:1], s[12:13]
	s_or_b64 exec, exec, s[0:1]
	v_add_u32_e32 v3, 13, v21
	global_store_byte v3, v2, s[2:3]
	v_lshlrev_b32_e32 v2, 16, v9
	v_mul_f32_e32 v2, v1, v2
	v_bfe_u32 v3, v2, 16, 1
	v_add3_u32 v3, v2, v3, s24
	v_and_b32_e32 v3, 0xffff0000, v3
	v_cmp_o_f32_e32 vcc, v2, v2
	v_cndmask_b32_e32 v2, v25, v3, vcc
	v_lshlrev_b32_e32 v3, 16, v5
	v_mul_f32_e32 v2, v2, v3
	v_bfe_u32 v3, v2, 16, 1
	v_add3_u32 v3, v2, v3, s24
	v_and_b32_e32 v3, 0xffff0000, v3
	v_cmp_o_f32_e32 vcc, v2, v2
	v_cndmask_b32_e32 v2, v25, v3, vcc
	v_mul_f32_e32 v2, v24, v2
	v_min_f32_e32 v2, 0x43600000, v2
	v_max_f32_e32 v4, 0xc3600000, v2
	v_and_b32_e32 v18, 0x7f800000, v4
	v_or_b32_sdwa v2, v4, s25 dst_sel:DWORD dst_unused:UNUSED_PAD src0_sel:BYTE_3 src1_sel:DWORD
	v_cmp_ne_u64_e32 vcc, s[6:7], v[18:19]
	s_and_saveexec_b64 s[0:1], vcc
	s_xor_b64 s[12:13], exec, s[0:1]
	s_cbranch_execz .LBB25_182
; %bb.173:                              ;   in Loop: Header=BB25_32 Depth=1
	v_and_b32_e32 v18, 0x7fffffff, v4
	v_cmp_gt_u64_e32 vcc, s[10:11], v[18:19]
	s_and_saveexec_b64 s[0:1], vcc
	s_xor_b64 s[14:15], exec, s[0:1]
	s_cbranch_execz .LBB25_181
; %bb.174:                              ;   in Loop: Header=BB25_32 Depth=1
	v_cmp_ne_u32_e32 vcc, 0, v4
	v_mov_b32_e32 v2, 0
	s_and_saveexec_b64 s[16:17], vcc
	s_cbranch_execz .LBB25_180
; %bb.175:                              ;   in Loop: Header=BB25_32 Depth=1
	v_bfe_u32 v3, v4, 23, 8
	v_and_b32_e32 v2, 0x7fffff, v4
	v_sub_u32_e64 v6, s26, v3 clamp
	v_cmp_eq_u32_e32 vcc, 0, v3
	v_or_b32_e32 v7, 0x800000, v2
	v_cndmask_b32_e32 v10, v6, v26, vcc
	v_cndmask_b32_e32 v18, v7, v2, vcc
	v_add_u32_e32 v2, 20, v10
	v_add_u32_e32 v8, 0xffffff89, v3
	v_lshlrev_b64 v[2:3], v2, -1
	v_not_b32_e32 v2, v2
	v_add_u32_e32 v6, 19, v10
	v_and_b32_e32 v2, v18, v2
	v_mov_b32_e32 v3, v19
	v_lshlrev_b64 v[6:7], v6, 1
	v_cmp_eq_u64_e64 s[0:1], v[2:3], v[6:7]
	v_lshrrev_b64 v[2:3], v10, v[18:19]
	v_and_b32_e32 v18, 0x100000, v2
	v_cndmask_b32_e32 v6, v8, v27, vcc
	v_cmp_eq_u64_e32 vcc, 0, v[18:19]
	v_lshrrev_b32_e32 v7, 23, v2
	s_and_b64 vcc, vcc, s[0:1]
	v_add3_u32 v7, v6, v10, v7
	v_subbrev_co_u32_e32 v6, vcc, 0, v2, vcc
	v_and_b32_e32 v6, 0xfffff, v6
	v_add_co_u32_e32 v2, vcc, v6, v2
	v_add_u32_e32 v8, -1, v7
	v_addc_co_u32_e32 v3, vcc, 0, v3, vcc
	v_cmp_ne_u32_e32 vcc, 0, v8
                                        ; implicit-def: $vgpr6
	s_and_saveexec_b64 s[0:1], vcc
	s_xor_b64 s[0:1], exec, s[0:1]
; %bb.176:                              ;   in Loop: Header=BB25_32 Depth=1
	v_and_b32_e32 v18, 0x1000000, v2
	v_cmp_eq_u64_e32 vcc, 0, v[18:19]
	v_cndmask_b32_e32 v6, v7, v8, vcc
	v_bfe_u32 v7, v2, 24, 1
	v_lshrrev_b64 v[2:3], v7, v[2:3]
; %bb.177:                              ;   in Loop: Header=BB25_32 Depth=1
	s_andn2_saveexec_b64 s[0:1], s[0:1]
; %bb.178:                              ;   in Loop: Header=BB25_32 Depth=1
	v_bfe_u32 v6, v2, 23, 1
; %bb.179:                              ;   in Loop: Header=BB25_32 Depth=1
	s_or_b64 exec, exec, s[0:1]
	v_lshrrev_b64 v[2:3], 20, v[2:3]
	v_cmp_gt_i32_e32 vcc, 16, v6
	v_and_b32_sdwa v4, v4, s27 dst_sel:DWORD dst_unused:UNUSED_PAD src0_sel:BYTE_3 src1_sel:DWORD
	v_min_i32_e32 v7, 15, v6
	v_cndmask_b32_e32 v3, 0, v3, vcc
	v_cndmask_b32_e32 v2, 7, v2, vcc
	v_cmp_eq_u32_e32 vcc, 0, v6
	v_cmp_eq_u64_e64 s[0:1], 0, v[2:3]
	v_lshl_or_b32 v3, v7, 3, v4
	v_and_or_b32 v2, v2, 7, v3
	s_and_b64 s[0:1], vcc, s[0:1]
	v_cndmask_b32_e64 v2, v2, 0, s[0:1]
.LBB25_180:                             ;   in Loop: Header=BB25_32 Depth=1
	s_or_b64 exec, exec, s[16:17]
.LBB25_181:                             ;   in Loop: Header=BB25_32 Depth=1
	s_andn2_saveexec_b64 s[0:1], s[14:15]
	s_or_b64 exec, exec, s[0:1]
.LBB25_182:                             ;   in Loop: Header=BB25_32 Depth=1
	s_andn2_saveexec_b64 s[0:1], s[12:13]
	s_or_b64 exec, exec, s[0:1]
	v_add_u32_e32 v3, 14, v21
	global_store_byte v3, v2, s[2:3]
	v_and_b32_e32 v2, 0xffff0000, v9
	v_mul_f32_e32 v2, v1, v2
	v_bfe_u32 v3, v2, 16, 1
	v_add3_u32 v3, v2, v3, s24
	v_and_b32_e32 v3, 0xffff0000, v3
	v_cmp_o_f32_e32 vcc, v2, v2
	v_cndmask_b32_e32 v2, v25, v3, vcc
	v_and_b32_e32 v3, 0xffff0000, v5
	v_mul_f32_e32 v2, v2, v3
	v_bfe_u32 v3, v2, 16, 1
	v_add3_u32 v3, v2, v3, s24
	v_and_b32_e32 v3, 0xffff0000, v3
	v_cmp_o_f32_e32 vcc, v2, v2
	v_cndmask_b32_e32 v2, v25, v3, vcc
	v_mul_f32_e32 v2, v24, v2
	v_min_f32_e32 v2, 0x43600000, v2
	v_max_f32_e32 v4, 0xc3600000, v2
	v_and_b32_e32 v18, 0x7f800000, v4
	v_or_b32_sdwa v2, v4, s25 dst_sel:DWORD dst_unused:UNUSED_PAD src0_sel:BYTE_3 src1_sel:DWORD
	v_cmp_ne_u64_e32 vcc, s[6:7], v[18:19]
	s_and_saveexec_b64 s[0:1], vcc
	s_xor_b64 s[12:13], exec, s[0:1]
	s_cbranch_execz .LBB25_31
; %bb.183:                              ;   in Loop: Header=BB25_32 Depth=1
	v_and_b32_e32 v18, 0x7fffffff, v4
	v_cmp_gt_u64_e32 vcc, s[10:11], v[18:19]
	s_and_saveexec_b64 s[0:1], vcc
	s_xor_b64 s[14:15], exec, s[0:1]
	s_cbranch_execz .LBB25_30
; %bb.184:                              ;   in Loop: Header=BB25_32 Depth=1
	v_cmp_ne_u32_e32 vcc, 0, v4
	v_mov_b32_e32 v2, 0
	s_and_saveexec_b64 s[16:17], vcc
	s_cbranch_execz .LBB25_29
; %bb.185:                              ;   in Loop: Header=BB25_32 Depth=1
	v_bfe_u32 v3, v4, 23, 8
	v_and_b32_e32 v2, 0x7fffff, v4
	v_sub_u32_e64 v5, s26, v3 clamp
	v_cmp_eq_u32_e32 vcc, 0, v3
	v_or_b32_e32 v6, 0x800000, v2
	v_cndmask_b32_e32 v5, v5, v26, vcc
	v_cndmask_b32_e32 v18, v6, v2, vcc
	v_add_u32_e32 v2, 20, v5
	v_add_u32_e32 v8, 0xffffff89, v3
	v_lshlrev_b64 v[2:3], v2, -1
	v_not_b32_e32 v2, v2
	v_add_u32_e32 v6, 19, v5
	v_and_b32_e32 v2, v18, v2
	v_mov_b32_e32 v3, v19
	v_lshlrev_b64 v[6:7], v6, 1
	v_cmp_eq_u64_e64 s[0:1], v[2:3], v[6:7]
	v_lshrrev_b64 v[2:3], v5, v[18:19]
	v_and_b32_e32 v18, 0x100000, v2
	v_cndmask_b32_e32 v6, v8, v27, vcc
	v_cmp_eq_u64_e32 vcc, 0, v[18:19]
	v_lshrrev_b32_e32 v7, 23, v2
	s_and_b64 vcc, vcc, s[0:1]
	v_add3_u32 v6, v6, v5, v7
	v_subbrev_co_u32_e32 v5, vcc, 0, v2, vcc
	v_and_b32_e32 v5, 0xfffff, v5
	v_add_co_u32_e32 v2, vcc, v5, v2
	v_add_u32_e32 v7, -1, v6
	v_addc_co_u32_e32 v3, vcc, 0, v3, vcc
	v_cmp_ne_u32_e32 vcc, 0, v7
                                        ; implicit-def: $vgpr5
	s_and_saveexec_b64 s[0:1], vcc
	s_xor_b64 s[0:1], exec, s[0:1]
; %bb.186:                              ;   in Loop: Header=BB25_32 Depth=1
	v_and_b32_e32 v18, 0x1000000, v2
	v_cmp_eq_u64_e32 vcc, 0, v[18:19]
	v_cndmask_b32_e32 v5, v6, v7, vcc
	v_bfe_u32 v6, v2, 24, 1
	v_lshrrev_b64 v[2:3], v6, v[2:3]
; %bb.187:                              ;   in Loop: Header=BB25_32 Depth=1
	s_andn2_saveexec_b64 s[0:1], s[0:1]
	s_cbranch_execz .LBB25_28
; %bb.188:                              ;   in Loop: Header=BB25_32 Depth=1
	v_bfe_u32 v5, v2, 23, 1
	s_branch .LBB25_28
.LBB25_189:
	s_endpgm
	.section	.rodata,"a",@progbits
	.p2align	6, 0x0
	.amdhsa_kernel _ZN4vllm32rms_norm_static_fp8_quant_kernelIN3c108BFloat16ENS1_15Float8_e4m3fnuzELi16EEEvPT0_PKT_iS8_PKffii
		.amdhsa_group_segment_fixed_size 68
		.amdhsa_private_segment_fixed_size 0
		.amdhsa_kernarg_size 312
		.amdhsa_user_sgpr_count 6
		.amdhsa_user_sgpr_private_segment_buffer 1
		.amdhsa_user_sgpr_dispatch_ptr 0
		.amdhsa_user_sgpr_queue_ptr 0
		.amdhsa_user_sgpr_kernarg_segment_ptr 1
		.amdhsa_user_sgpr_dispatch_id 0
		.amdhsa_user_sgpr_flat_scratch_init 0
		.amdhsa_user_sgpr_kernarg_preload_length 0
		.amdhsa_user_sgpr_kernarg_preload_offset 0
		.amdhsa_user_sgpr_private_segment_size 0
		.amdhsa_uses_dynamic_stack 0
		.amdhsa_system_sgpr_private_segment_wavefront_offset 0
		.amdhsa_system_sgpr_workgroup_id_x 1
		.amdhsa_system_sgpr_workgroup_id_y 0
		.amdhsa_system_sgpr_workgroup_id_z 0
		.amdhsa_system_sgpr_workgroup_info 0
		.amdhsa_system_vgpr_workitem_id 0
		.amdhsa_next_free_vgpr 34
		.amdhsa_next_free_sgpr 28
		.amdhsa_accum_offset 36
		.amdhsa_reserve_vcc 1
		.amdhsa_reserve_flat_scratch 0
		.amdhsa_float_round_mode_32 0
		.amdhsa_float_round_mode_16_64 0
		.amdhsa_float_denorm_mode_32 3
		.amdhsa_float_denorm_mode_16_64 3
		.amdhsa_dx10_clamp 1
		.amdhsa_ieee_mode 1
		.amdhsa_fp16_overflow 0
		.amdhsa_tg_split 0
		.amdhsa_exception_fp_ieee_invalid_op 0
		.amdhsa_exception_fp_denorm_src 0
		.amdhsa_exception_fp_ieee_div_zero 0
		.amdhsa_exception_fp_ieee_overflow 0
		.amdhsa_exception_fp_ieee_underflow 0
		.amdhsa_exception_fp_ieee_inexact 0
		.amdhsa_exception_int_div_zero 0
	.end_amdhsa_kernel
	.section	.text._ZN4vllm32rms_norm_static_fp8_quant_kernelIN3c108BFloat16ENS1_15Float8_e4m3fnuzELi16EEEvPT0_PKT_iS8_PKffii,"axG",@progbits,_ZN4vllm32rms_norm_static_fp8_quant_kernelIN3c108BFloat16ENS1_15Float8_e4m3fnuzELi16EEEvPT0_PKT_iS8_PKffii,comdat
.Lfunc_end25:
	.size	_ZN4vllm32rms_norm_static_fp8_quant_kernelIN3c108BFloat16ENS1_15Float8_e4m3fnuzELi16EEEvPT0_PKT_iS8_PKffii, .Lfunc_end25-_ZN4vllm32rms_norm_static_fp8_quant_kernelIN3c108BFloat16ENS1_15Float8_e4m3fnuzELi16EEEvPT0_PKT_iS8_PKffii
                                        ; -- End function
	.section	.AMDGPU.csdata,"",@progbits
; Kernel info:
; codeLenInByte = 10252
; NumSgprs: 32
; NumVgprs: 34
; NumAgprs: 0
; TotalNumVgprs: 34
; ScratchSize: 0
; MemoryBound: 0
; FloatMode: 240
; IeeeMode: 1
; LDSByteSize: 68 bytes/workgroup (compile time only)
; SGPRBlocks: 3
; VGPRBlocks: 4
; NumSGPRsForWavesPerEU: 32
; NumVGPRsForWavesPerEU: 34
; AccumOffset: 36
; Occupancy: 8
; WaveLimiterHint : 0
; COMPUTE_PGM_RSRC2:SCRATCH_EN: 0
; COMPUTE_PGM_RSRC2:USER_SGPR: 6
; COMPUTE_PGM_RSRC2:TRAP_HANDLER: 0
; COMPUTE_PGM_RSRC2:TGID_X_EN: 1
; COMPUTE_PGM_RSRC2:TGID_Y_EN: 0
; COMPUTE_PGM_RSRC2:TGID_Z_EN: 0
; COMPUTE_PGM_RSRC2:TIDIG_COMP_CNT: 0
; COMPUTE_PGM_RSRC3_GFX90A:ACCUM_OFFSET: 8
; COMPUTE_PGM_RSRC3_GFX90A:TG_SPLIT: 0
	.section	.text._ZN4vllm32rms_norm_static_fp8_quant_kernelIN3c108BFloat16ENS1_15Float8_e4m3fnuzELi8EEEvPT0_PKT_iS8_PKffii,"axG",@progbits,_ZN4vllm32rms_norm_static_fp8_quant_kernelIN3c108BFloat16ENS1_15Float8_e4m3fnuzELi8EEEvPT0_PKT_iS8_PKffii,comdat
	.protected	_ZN4vllm32rms_norm_static_fp8_quant_kernelIN3c108BFloat16ENS1_15Float8_e4m3fnuzELi8EEEvPT0_PKT_iS8_PKffii ; -- Begin function _ZN4vllm32rms_norm_static_fp8_quant_kernelIN3c108BFloat16ENS1_15Float8_e4m3fnuzELi8EEEvPT0_PKT_iS8_PKffii
	.globl	_ZN4vllm32rms_norm_static_fp8_quant_kernelIN3c108BFloat16ENS1_15Float8_e4m3fnuzELi8EEEvPT0_PKT_iS8_PKffii
	.p2align	8
	.type	_ZN4vllm32rms_norm_static_fp8_quant_kernelIN3c108BFloat16ENS1_15Float8_e4m3fnuzELi8EEEvPT0_PKT_iS8_PKffii,@function
_ZN4vllm32rms_norm_static_fp8_quant_kernelIN3c108BFloat16ENS1_15Float8_e4m3fnuzELi8EEEvPT0_PKT_iS8_PKffii: ; @_ZN4vllm32rms_norm_static_fp8_quant_kernelIN3c108BFloat16ENS1_15Float8_e4m3fnuzELi8EEEvPT0_PKT_iS8_PKffii
; %bb.0:
	s_load_dword s2, s[4:5], 0x10
	s_load_dwordx2 s[0:1], s[4:5], 0x8
	s_load_dword s7, s[4:5], 0x30
	s_load_dword s10, s[4:5], 0x44
	s_mov_b32 s9, 0
	s_waitcnt lgkmcnt(0)
	s_mul_i32 s8, s6, s2
	s_lshl_b64 s[2:3], s[8:9], 1
	s_add_u32 s18, s0, s2
	s_addc_u32 s19, s1, s3
	s_and_b32 s20, s10, 0xffff
	s_and_b32 s8, s18, 15
	s_cmp_lg_u64 s[8:9], 0
	s_cselect_b64 s[8:9], -1, 0
	s_and_b32 s10, s7, 7
	s_cmp_lg_u32 s10, 0
	s_cselect_b64 s[10:11], -1, 0
	s_or_b64 s[8:9], s[8:9], s[10:11]
	s_and_b64 vcc, exec, s[8:9]
	s_cbranch_vccz .LBB26_14
; %bb.1:
	s_sub_i32 s8, 0, s18
	s_bfe_u32 s8, s8, 0x30001
	s_min_i32 s8, s8, s7
	v_cmp_gt_i32_e32 vcc, s8, v0
	v_mov_b32_e32 v1, 0
	s_and_saveexec_b64 s[10:11], vcc
	s_cbranch_execz .LBB26_5
; %bb.2:
	s_add_u32 s9, s0, s2
	v_lshlrev_b32_e32 v1, 1, v0
	s_addc_u32 s12, s1, s3
	s_mov_b32 s14, 0
	v_mov_b32_e32 v3, s12
	v_add_co_u32_e32 v2, vcc, s9, v1
	v_addc_co_u32_e32 v3, vcc, 0, v3, vcc
	s_lshl_b32 s9, s20, 1
	s_mov_b64 s[12:13], 0
	v_mov_b32_e32 v1, 0
	v_mov_b32_e32 v4, s14
	v_mov_b32_e32 v5, v0
.LBB26_3:                               ; =>This Inner Loop Header: Depth=1
	global_load_ushort v6, v[2:3], off
	v_add_co_u32_e32 v2, vcc, s9, v2
	v_add_u32_e32 v5, s20, v5
	v_addc_co_u32_e32 v3, vcc, v3, v4, vcc
	v_cmp_le_i32_e32 vcc, s8, v5
	s_or_b64 s[12:13], vcc, s[12:13]
	s_waitcnt vmcnt(0)
	v_lshlrev_b32_e32 v6, 16, v6
	v_fmac_f32_e32 v1, v6, v6
	s_andn2_b64 exec, exec, s[12:13]
	s_cbranch_execnz .LBB26_3
; %bb.4:
	s_or_b64 exec, exec, s[12:13]
.LBB26_5:
	s_or_b64 exec, exec, s[10:11]
	s_sub_i32 s14, s7, s8
	s_ashr_i32 s10, s14, 31
	s_lshr_b32 s10, s10, 29
	s_add_i32 s10, s14, s10
	s_ashr_i32 s15, s10, 3
	s_ashr_i32 s9, s8, 31
	v_cmp_gt_i32_e32 vcc, s15, v0
	s_and_saveexec_b64 s[10:11], vcc
	s_cbranch_execz .LBB26_9
; %bb.6:
	s_lshl_b64 s[12:13], s[8:9], 1
	s_add_u32 s16, s0, s2
	s_addc_u32 s21, s1, s3
	s_add_u32 s12, s16, s12
	v_lshlrev_b32_e32 v2, 4, v0
	s_addc_u32 s13, s21, s13
	v_mov_b32_e32 v3, s13
	v_add_co_u32_e32 v2, vcc, s12, v2
	v_addc_co_u32_e32 v3, vcc, 0, v3, vcc
	s_mov_b32 s17, 0
	v_add_co_u32_e32 v2, vcc, 8, v2
	v_addc_co_u32_e32 v3, vcc, 0, v3, vcc
	s_lshl_b32 s16, s20, 4
	s_mov_b64 s[12:13], 0
	v_mov_b32_e32 v4, s17
	v_mov_b32_e32 v5, v0
.LBB26_7:                               ; =>This Inner Loop Header: Depth=1
	global_load_dwordx4 v[6:9], v[2:3], off offset:-8
	v_add_co_u32_e32 v2, vcc, s16, v2
	v_add_u32_e32 v5, s20, v5
	v_addc_co_u32_e32 v3, vcc, v3, v4, vcc
	v_cmp_le_i32_e32 vcc, s15, v5
	s_or_b64 s[12:13], vcc, s[12:13]
	s_waitcnt vmcnt(0)
	v_and_b32_e32 v11, 0xffff0000, v6
	v_lshlrev_b32_e32 v10, 16, v6
	v_and_b32_e32 v13, 0xffff0000, v7
	v_lshlrev_b32_e32 v12, 16, v7
	;; [unrolled: 2-line block ×4, first 2 shown]
	v_pk_mul_f32 v[8:9], v[10:11], v[10:11]
	v_add_f32_e32 v1, v1, v8
	v_pk_mul_f32 v[10:11], v[12:13], v[12:13]
	v_add_f32_e32 v1, v1, v9
	v_add_f32_e32 v1, v1, v10
	v_pk_mul_f32 v[6:7], v[6:7], v[6:7]
	v_add_f32_e32 v1, v1, v11
	;; [unrolled: 3-line block ×3, first 2 shown]
	v_add_f32_e32 v1, v1, v12
	v_add_f32_e32 v1, v1, v13
	s_andn2_b64 exec, exec, s[12:13]
	s_cbranch_execnz .LBB26_7
; %bb.8:
	s_or_b64 exec, exec, s[12:13]
.LBB26_9:
	s_or_b64 exec, exec, s[10:11]
	v_lshl_add_u32 v2, s15, 3, v0
	v_cmp_gt_i32_e32 vcc, s14, v2
	s_and_saveexec_b64 s[10:11], vcc
	s_cbranch_execz .LBB26_13
; %bb.10:
	s_lshl_b64 s[8:9], s[8:9], 1
	s_add_u32 s12, s0, s2
	s_addc_u32 s13, s1, s3
	v_ashrrev_i32_e32 v3, 31, v2
	s_add_u32 s8, s12, s8
	v_lshlrev_b64 v[4:5], 1, v[2:3]
	s_addc_u32 s9, s13, s9
	v_mov_b32_e32 v3, s9
	v_add_co_u32_e32 v4, vcc, s8, v4
	s_mov_b32 s13, 0
	v_addc_co_u32_e32 v5, vcc, v3, v5, vcc
	s_lshl_b32 s12, s20, 1
	s_mov_b64 s[8:9], 0
	v_mov_b32_e32 v3, s13
.LBB26_11:                              ; =>This Inner Loop Header: Depth=1
	global_load_ushort v6, v[4:5], off
	v_add_co_u32_e32 v4, vcc, s12, v4
	v_add_u32_e32 v2, s20, v2
	v_addc_co_u32_e32 v5, vcc, v5, v3, vcc
	v_cmp_le_i32_e32 vcc, s14, v2
	s_or_b64 s[8:9], vcc, s[8:9]
	s_waitcnt vmcnt(0)
	v_lshlrev_b32_e32 v6, 16, v6
	v_fmac_f32_e32 v1, v6, v6
	s_andn2_b64 exec, exec, s[8:9]
	s_cbranch_execnz .LBB26_11
; %bb.12:
	s_or_b64 exec, exec, s[8:9]
.LBB26_13:
	s_or_b64 exec, exec, s[10:11]
	s_branch .LBB26_20
.LBB26_14:
                                        ; implicit-def: $vgpr1
	s_cbranch_execz .LBB26_20
; %bb.15:
	s_ashr_i32 s10, s7, 3
	v_cmp_gt_i32_e32 vcc, s10, v0
	v_mov_b32_e32 v1, 0
	s_and_saveexec_b64 s[8:9], vcc
	s_cbranch_execz .LBB26_19
; %bb.16:
	s_add_u32 s0, s0, s2
	v_lshlrev_b32_e32 v1, 4, v0
	s_addc_u32 s1, s1, s3
	v_mov_b32_e32 v2, s1
	v_add_co_u32_e32 v1, vcc, s0, v1
	v_addc_co_u32_e32 v3, vcc, 0, v2, vcc
	s_mov_b32 s11, 0
	v_add_co_u32_e32 v2, vcc, 8, v1
	v_addc_co_u32_e32 v3, vcc, 0, v3, vcc
	s_lshl_b32 s2, s20, 4
	s_mov_b64 s[0:1], 0
	v_mov_b32_e32 v1, 0
	v_mov_b32_e32 v4, s11
	;; [unrolled: 1-line block ×3, first 2 shown]
.LBB26_17:                              ; =>This Inner Loop Header: Depth=1
	global_load_dwordx4 v[6:9], v[2:3], off offset:-8
	v_add_co_u32_e32 v2, vcc, s2, v2
	v_add_u32_e32 v5, s20, v5
	v_addc_co_u32_e32 v3, vcc, v3, v4, vcc
	v_cmp_le_i32_e32 vcc, s10, v5
	s_or_b64 s[0:1], vcc, s[0:1]
	s_waitcnt vmcnt(0)
	v_and_b32_e32 v11, 0xffff0000, v6
	v_lshlrev_b32_e32 v10, 16, v6
	v_and_b32_e32 v13, 0xffff0000, v7
	v_lshlrev_b32_e32 v12, 16, v7
	;; [unrolled: 2-line block ×4, first 2 shown]
	v_pk_mul_f32 v[8:9], v[10:11], v[10:11]
	v_add_f32_e32 v1, v1, v8
	v_pk_mul_f32 v[10:11], v[12:13], v[12:13]
	v_add_f32_e32 v1, v9, v1
	v_add_f32_e32 v1, v10, v1
	v_pk_mul_f32 v[6:7], v[6:7], v[6:7]
	v_add_f32_e32 v1, v11, v1
	;; [unrolled: 3-line block ×3, first 2 shown]
	v_add_f32_e32 v1, v12, v1
	v_add_f32_e32 v1, v13, v1
	s_andn2_b64 exec, exec, s[0:1]
	s_cbranch_execnz .LBB26_17
; %bb.18:
	s_or_b64 exec, exec, s[0:1]
.LBB26_19:
	s_or_b64 exec, exec, s[8:9]
.LBB26_20:
	v_mbcnt_lo_u32_b32 v2, -1, 0
	v_mbcnt_hi_u32_b32 v2, -1, v2
	v_and_b32_e32 v3, 63, v2
	v_cmp_ne_u32_e32 vcc, 63, v3
	v_addc_co_u32_e32 v4, vcc, 0, v2, vcc
	v_lshlrev_b32_e32 v4, 2, v4
	ds_bpermute_b32 v4, v4, v1
	v_and_b32_e32 v5, 0x3c0, v0
	v_sub_u32_e64 v5, s20, v5 clamp
	v_add_u32_e32 v6, 1, v2
	v_cmp_lt_u32_e32 vcc, v6, v5
	s_waitcnt lgkmcnt(0)
	v_add_f32_e32 v4, v1, v4
	v_cndmask_b32_e32 v1, v1, v4, vcc
	v_cmp_gt_u32_e32 vcc, 62, v3
	v_cndmask_b32_e64 v4, 0, 1, vcc
	v_lshlrev_b32_e32 v4, 1, v4
	v_add_lshl_u32 v4, v4, v2, 2
	ds_bpermute_b32 v4, v4, v1
	v_add_u32_e32 v6, 2, v2
	v_cmp_lt_u32_e32 vcc, v6, v5
	v_add_u32_e32 v6, 4, v2
	s_waitcnt lgkmcnt(0)
	v_add_f32_e32 v4, v1, v4
	v_cndmask_b32_e32 v1, v1, v4, vcc
	v_cmp_gt_u32_e32 vcc, 60, v3
	v_cndmask_b32_e64 v4, 0, 1, vcc
	v_lshlrev_b32_e32 v4, 2, v4
	v_add_lshl_u32 v4, v4, v2, 2
	ds_bpermute_b32 v4, v4, v1
	v_cmp_lt_u32_e32 vcc, v6, v5
	v_add_u32_e32 v6, 8, v2
	s_waitcnt lgkmcnt(0)
	v_add_f32_e32 v4, v1, v4
	v_cndmask_b32_e32 v1, v1, v4, vcc
	v_cmp_gt_u32_e32 vcc, 56, v3
	v_cndmask_b32_e64 v4, 0, 1, vcc
	v_lshlrev_b32_e32 v4, 3, v4
	v_add_lshl_u32 v4, v4, v2, 2
	ds_bpermute_b32 v4, v4, v1
	;; [unrolled: 10-line block ×3, first 2 shown]
	v_cmp_lt_u32_e32 vcc, v6, v5
	s_waitcnt lgkmcnt(0)
	v_add_f32_e32 v4, v1, v4
	v_cndmask_b32_e32 v1, v1, v4, vcc
	v_cmp_gt_u32_e32 vcc, 32, v3
	v_cndmask_b32_e64 v3, 0, 1, vcc
	v_lshlrev_b32_e32 v3, 5, v3
	v_add_lshl_u32 v3, v3, v2, 2
	ds_bpermute_b32 v3, v3, v1
	v_add_u32_e32 v4, 32, v2
	v_cmp_lt_u32_e32 vcc, v4, v5
	s_waitcnt lgkmcnt(0)
	v_add_f32_e32 v3, v1, v3
	v_cndmask_b32_e32 v1, v1, v3, vcc
	v_cmp_eq_u32_e32 vcc, 0, v2
	s_and_saveexec_b64 s[0:1], vcc
	s_cbranch_execz .LBB26_22
; %bb.21:
	v_lshrrev_b32_e32 v3, 4, v0
	v_and_b32_e32 v3, 60, v3
	ds_write_b32 v3, v1
.LBB26_22:
	s_or_b64 exec, exec, s[0:1]
	v_cmp_gt_u32_e32 vcc, 16, v0
	s_waitcnt lgkmcnt(0)
	s_barrier
	s_and_saveexec_b64 s[2:3], vcc
	s_cbranch_execz .LBB26_24
; %bb.23:
	v_lshlrev_b32_e32 v1, 2, v2
	ds_read_b32 v1, v1
	v_and_b32_e32 v3, 15, v2
	v_cmp_ne_u32_e32 vcc, 15, v3
	v_addc_co_u32_e32 v4, vcc, 0, v2, vcc
	v_lshlrev_b32_e32 v4, 2, v4
	s_waitcnt lgkmcnt(0)
	ds_bpermute_b32 v4, v4, v1
	s_add_i32 s0, s20, 63
	s_lshr_b32 s8, s0, 6
	v_add_u32_e32 v5, 1, v3
	v_cmp_gt_u32_e64 s[0:1], 14, v3
	v_cmp_gt_u32_e32 vcc, s8, v5
	v_cndmask_b32_e64 v5, 0, 1, s[0:1]
	s_waitcnt lgkmcnt(0)
	v_add_f32_e32 v4, v1, v4
	v_lshlrev_b32_e32 v5, 1, v5
	v_cndmask_b32_e32 v4, v1, v4, vcc
	v_add_lshl_u32 v5, v5, v2, 2
	ds_bpermute_b32 v5, v5, v4
	v_add_u32_e32 v6, 2, v3
	v_cmp_gt_u32_e64 s[0:1], s8, v6
	v_add_u32_e32 v6, 4, v3
	s_waitcnt lgkmcnt(0)
	v_add_f32_e32 v5, v4, v5
	v_cndmask_b32_e64 v4, v4, v5, s[0:1]
	v_cmp_gt_u32_e64 s[0:1], 12, v3
	v_cndmask_b32_e64 v5, 0, 1, s[0:1]
	v_lshlrev_b32_e32 v5, 2, v5
	v_add_lshl_u32 v5, v5, v2, 2
	ds_bpermute_b32 v5, v5, v4
	v_cmp_gt_u32_e64 s[0:1], s8, v6
	s_waitcnt lgkmcnt(0)
	v_add_f32_e32 v5, v4, v5
	v_cndmask_b32_e64 v4, v4, v5, s[0:1]
	v_cmp_gt_u32_e64 s[0:1], 8, v3
	v_cndmask_b32_e64 v5, 0, 1, s[0:1]
	v_lshlrev_b32_e32 v5, 3, v5
	v_add_lshl_u32 v2, v5, v2, 2
	ds_bpermute_b32 v2, v2, v4
	v_add_u32_e32 v3, 8, v3
	v_cmp_gt_u32_e64 s[0:1], s8, v3
	s_waitcnt lgkmcnt(0)
	v_add_f32_e32 v2, v4, v2
	v_cndmask_b32_e64 v2, v4, v2, s[0:1]
	v_cndmask_b32_e32 v1, v1, v2, vcc
.LBB26_24:
	s_or_b64 exec, exec, s[2:3]
	v_cmp_eq_u32_e32 vcc, 0, v0
	s_and_saveexec_b64 s[0:1], vcc
	s_cbranch_execz .LBB26_26
; %bb.25:
	v_cvt_f32_i32_e32 v2, s7
	s_load_dword s8, s[4:5], 0x28
	v_div_scale_f32 v3, s[2:3], v2, v2, v1
	v_rcp_f32_e32 v4, v3
	v_div_scale_f32 v5, vcc, v1, v2, v1
	s_mov_b32 s2, 0x800000
	v_fma_f32 v6, -v3, v4, 1.0
	v_fmac_f32_e32 v4, v6, v4
	v_mul_f32_e32 v6, v5, v4
	v_fma_f32 v7, -v3, v6, v5
	v_fmac_f32_e32 v6, v7, v4
	v_fma_f32 v3, -v3, v6, v5
	v_div_fmas_f32 v3, v3, v4, v6
	v_div_fixup_f32 v1, v3, v2, v1
	s_waitcnt lgkmcnt(0)
	v_add_f32_e32 v1, s8, v1
	v_mul_f32_e32 v2, 0x4b800000, v1
	v_cmp_gt_f32_e32 vcc, s2, v1
	v_cndmask_b32_e32 v1, v1, v2, vcc
	v_rsq_f32_e32 v1, v1
	v_mul_f32_e32 v2, 0x45800000, v1
	v_cndmask_b32_e32 v1, v1, v2, vcc
	v_mov_b32_e32 v2, 0
	ds_write_b32 v2, v1 offset:64
.LBB26_26:
	s_or_b64 exec, exec, s[0:1]
	s_ashr_i32 s0, s7, 31
	s_lshr_b32 s0, s0, 29
	s_add_i32 s0, s7, s0
	s_ashr_i32 s21, s0, 3
	v_cmp_gt_i32_e32 vcc, s21, v0
	s_waitcnt lgkmcnt(0)
	s_barrier
	s_and_saveexec_b64 s[0:1], vcc
	s_cbranch_execz .LBB26_109
; %bb.27:
	s_load_dwordx4 s[8:11], s[4:5], 0x18
	s_load_dwordx2 s[2:3], s[4:5], 0x0
	v_mov_b32_e32 v11, 0
	ds_read_b32 v1, v11 offset:64
	s_mul_i32 s6, s6, s7
	s_waitcnt lgkmcnt(0)
	s_load_dword s4, s[10:11], 0x0
	s_lshl_b32 s22, s20, 3
	v_lshlrev_b32_e32 v12, 4, v0
	v_lshl_add_u32 v13, v0, 3, s6
	s_lshl_b32 s23, s20, 4
	s_waitcnt lgkmcnt(0)
	v_div_scale_f32 v2, s[0:1], s4, s4, 1.0
	v_rcp_f32_e32 v3, v2
	v_div_scale_f32 v4, vcc, 1.0, s4, 1.0
	s_movk_i32 s24, 0x7fff
	v_fma_f32 v5, -v2, v3, 1.0
	v_fmac_f32_e32 v3, v5, v3
	v_mul_f32_e32 v5, v4, v3
	v_fma_f32 v6, -v2, v5, v4
	v_fmac_f32_e32 v5, v6, v3
	v_fma_f32 v2, -v2, v5, v4
	v_div_fmas_f32 v2, v2, v3, v5
	v_div_fixup_f32 v16, v2, s4, 1.0
	s_mov_b64 s[4:5], 0
	v_mov_b32_e32 v17, 0x7fc00000
	s_movk_i32 s25, 0x7f
	s_mov_b64 s[6:7], 0x7f800000
	s_mov_b64 s[10:11], 0x43700001
	s_movk_i32 s26, 0x78
	s_movk_i32 s27, 0x80
	v_mov_b32_e32 v18, 0x77
	v_mov_b32_e32 v19, 0xffffff8a
	s_branch .LBB26_32
.LBB26_28:                              ;   in Loop: Header=BB26_32 Depth=1
	s_or_b64 exec, exec, s[0:1]
	v_lshrrev_b64 v[2:3], 20, v[2:3]
	v_cmp_gt_i32_e32 vcc, 16, v5
	v_and_b32_sdwa v4, v4, s27 dst_sel:DWORD dst_unused:UNUSED_PAD src0_sel:BYTE_3 src1_sel:DWORD
	v_min_i32_e32 v6, 15, v5
	v_cndmask_b32_e32 v3, 0, v3, vcc
	v_cndmask_b32_e32 v2, 7, v2, vcc
	v_cmp_eq_u32_e32 vcc, 0, v5
	v_cmp_eq_u64_e64 s[0:1], 0, v[2:3]
	v_lshl_or_b32 v3, v6, 3, v4
	v_and_or_b32 v2, v2, 7, v3
	s_and_b64 s[0:1], vcc, s[0:1]
	v_cndmask_b32_e64 v2, v2, 0, s[0:1]
.LBB26_29:                              ;   in Loop: Header=BB26_32 Depth=1
	s_or_b64 exec, exec, s[16:17]
.LBB26_30:                              ;   in Loop: Header=BB26_32 Depth=1
	s_andn2_saveexec_b64 s[0:1], s[14:15]
	s_or_b64 exec, exec, s[0:1]
.LBB26_31:                              ;   in Loop: Header=BB26_32 Depth=1
	s_andn2_saveexec_b64 s[0:1], s[12:13]
	s_or_b64 exec, exec, s[0:1]
	s_add_u32 s8, s8, s23
	s_addc_u32 s9, s9, 0
	v_add_u32_e32 v0, s20, v0
	s_add_u32 s18, s18, s23
	s_addc_u32 s19, s19, 0
	v_cmp_le_i32_e32 vcc, s21, v0
	v_add_u32_e32 v3, 7, v13
	s_or_b64 s[4:5], vcc, s[4:5]
	v_add_u32_e32 v13, s22, v13
	global_store_byte v3, v2, s[2:3]
	s_andn2_b64 exec, exec, s[4:5]
	s_cbranch_execz .LBB26_109
.LBB26_32:                              ; =>This Inner Loop Header: Depth=1
	v_mov_b32_e32 v3, s19
	v_add_co_u32_e32 v2, vcc, s18, v12
	v_addc_co_u32_e32 v3, vcc, 0, v3, vcc
	global_load_dwordx4 v[2:5], v[2:3], off
	v_mov_b32_e32 v7, s9
	v_add_co_u32_e32 v6, vcc, s8, v12
	v_addc_co_u32_e32 v7, vcc, 0, v7, vcc
	global_load_dwordx4 v[6:9], v[6:7], off
	s_waitcnt vmcnt(1)
	v_lshlrev_b32_e32 v10, 16, v2
	v_mul_f32_e32 v10, v1, v10
	v_bfe_u32 v15, v10, 16, 1
	v_add3_u32 v15, v10, v15, s24
	v_and_b32_e32 v15, 0xffff0000, v15
	v_cmp_o_f32_e32 vcc, v10, v10
	s_waitcnt vmcnt(0)
	v_lshlrev_b32_e32 v14, 16, v6
	v_cndmask_b32_e32 v10, v17, v15, vcc
	v_mul_f32_e32 v10, v10, v14
	v_bfe_u32 v14, v10, 16, 1
	v_add3_u32 v14, v10, v14, s24
	v_and_b32_e32 v14, 0xffff0000, v14
	v_cmp_o_f32_e32 vcc, v10, v10
	v_cndmask_b32_e32 v10, v17, v14, vcc
	v_mul_f32_e32 v10, v16, v10
	v_min_f32_e32 v10, 0x43600000, v10
	v_max_f32_e32 v20, 0xc3600000, v10
	v_and_b32_e32 v10, 0x7f800000, v20
	v_or_b32_sdwa v14, v20, s25 dst_sel:DWORD dst_unused:UNUSED_PAD src0_sel:BYTE_3 src1_sel:DWORD
	v_cmp_ne_u64_e32 vcc, s[6:7], v[10:11]
	s_and_saveexec_b64 s[0:1], vcc
	s_xor_b64 s[12:13], exec, s[0:1]
	s_cbranch_execz .LBB26_42
; %bb.33:                               ;   in Loop: Header=BB26_32 Depth=1
	v_and_b32_e32 v10, 0x7fffffff, v20
	v_cmp_gt_u64_e32 vcc, s[10:11], v[10:11]
	s_and_saveexec_b64 s[0:1], vcc
	s_xor_b64 s[14:15], exec, s[0:1]
	s_cbranch_execz .LBB26_41
; %bb.34:                               ;   in Loop: Header=BB26_32 Depth=1
	v_cmp_ne_u32_e32 vcc, 0, v20
	v_mov_b32_e32 v14, 0
	s_and_saveexec_b64 s[16:17], vcc
	s_cbranch_execz .LBB26_40
; %bb.35:                               ;   in Loop: Header=BB26_32 Depth=1
	v_bfe_u32 v14, v20, 23, 8
	v_sub_u32_e64 v15, s26, v14 clamp
	v_cmp_eq_u32_e32 vcc, 0, v14
	v_cndmask_b32_e32 v25, v15, v18, vcc
	v_and_b32_e32 v10, 0x7fffff, v20
	v_add_u32_e32 v24, 0xffffff89, v14
	v_add_u32_e32 v14, 20, v25
	v_or_b32_e32 v21, 0x800000, v10
	v_lshlrev_b64 v[14:15], v14, -1
	v_cndmask_b32_e32 v10, v21, v10, vcc
	v_not_b32_e32 v14, v14
	v_add_u32_e32 v21, 19, v25
	v_and_b32_e32 v14, v10, v14
	v_mov_b32_e32 v15, v11
	v_lshlrev_b64 v[22:23], v21, 1
	v_cmp_eq_u64_e64 s[0:1], v[14:15], v[22:23]
	v_lshrrev_b64 v[14:15], v25, v[10:11]
	v_cndmask_b32_e32 v10, v24, v19, vcc
	v_lshrrev_b32_e32 v21, 23, v14
	v_add3_u32 v21, v10, v25, v21
	v_and_b32_e32 v10, 0x100000, v14
	v_cmp_eq_u64_e32 vcc, 0, v[10:11]
	s_and_b64 vcc, vcc, s[0:1]
	v_subbrev_co_u32_e32 v10, vcc, 0, v14, vcc
	v_and_b32_e32 v10, 0xfffff, v10
	v_add_co_u32_e32 v14, vcc, v10, v14
	v_add_u32_e32 v22, -1, v21
	v_addc_co_u32_e32 v15, vcc, 0, v15, vcc
	v_cmp_ne_u32_e32 vcc, 0, v22
                                        ; implicit-def: $vgpr10
	s_and_saveexec_b64 s[0:1], vcc
	s_xor_b64 s[0:1], exec, s[0:1]
; %bb.36:                               ;   in Loop: Header=BB26_32 Depth=1
	v_and_b32_e32 v10, 0x1000000, v14
	v_cmp_eq_u64_e32 vcc, 0, v[10:11]
	v_cndmask_b32_e32 v10, v21, v22, vcc
	v_bfe_u32 v21, v14, 24, 1
	v_lshrrev_b64 v[14:15], v21, v[14:15]
; %bb.37:                               ;   in Loop: Header=BB26_32 Depth=1
	s_andn2_saveexec_b64 s[0:1], s[0:1]
; %bb.38:                               ;   in Loop: Header=BB26_32 Depth=1
	v_bfe_u32 v10, v14, 23, 1
; %bb.39:                               ;   in Loop: Header=BB26_32 Depth=1
	s_or_b64 exec, exec, s[0:1]
	v_lshrrev_b64 v[14:15], 20, v[14:15]
	v_cmp_gt_i32_e32 vcc, 16, v10
	v_and_b32_sdwa v20, v20, s27 dst_sel:DWORD dst_unused:UNUSED_PAD src0_sel:BYTE_3 src1_sel:DWORD
	v_min_i32_e32 v21, 15, v10
	v_cndmask_b32_e32 v15, 0, v15, vcc
	v_cndmask_b32_e32 v14, 7, v14, vcc
	v_cmp_eq_u32_e32 vcc, 0, v10
	v_cmp_eq_u64_e64 s[0:1], 0, v[14:15]
	v_lshl_or_b32 v10, v21, 3, v20
	v_and_or_b32 v10, v14, 7, v10
	s_and_b64 s[0:1], vcc, s[0:1]
	v_cndmask_b32_e64 v14, v10, 0, s[0:1]
.LBB26_40:                              ;   in Loop: Header=BB26_32 Depth=1
	s_or_b64 exec, exec, s[16:17]
.LBB26_41:                              ;   in Loop: Header=BB26_32 Depth=1
	s_andn2_saveexec_b64 s[0:1], s[14:15]
	s_or_b64 exec, exec, s[0:1]
.LBB26_42:                              ;   in Loop: Header=BB26_32 Depth=1
	s_andn2_saveexec_b64 s[0:1], s[12:13]
	s_or_b64 exec, exec, s[0:1]
	v_and_b32_e32 v2, 0xffff0000, v2
	v_mul_f32_e32 v2, v1, v2
	v_bfe_u32 v10, v2, 16, 1
	v_add3_u32 v10, v2, v10, s24
	v_and_b32_e32 v10, 0xffff0000, v10
	v_cmp_o_f32_e32 vcc, v2, v2
	v_cndmask_b32_e32 v2, v17, v10, vcc
	v_and_b32_e32 v6, 0xffff0000, v6
	v_mul_f32_e32 v2, v2, v6
	v_bfe_u32 v6, v2, 16, 1
	v_add3_u32 v6, v2, v6, s24
	v_and_b32_e32 v6, 0xffff0000, v6
	v_cmp_o_f32_e32 vcc, v2, v2
	v_cndmask_b32_e32 v2, v17, v6, vcc
	v_mul_f32_e32 v2, v16, v2
	v_min_f32_e32 v2, 0x43600000, v2
	v_max_f32_e32 v2, 0xc3600000, v2
	v_and_b32_e32 v10, 0x7f800000, v2
	v_or_b32_sdwa v6, v2, s25 dst_sel:DWORD dst_unused:UNUSED_PAD src0_sel:BYTE_3 src1_sel:DWORD
	v_cmp_ne_u64_e32 vcc, s[6:7], v[10:11]
	global_store_byte v13, v14, s[2:3]
	s_and_saveexec_b64 s[0:1], vcc
	s_xor_b64 s[12:13], exec, s[0:1]
	s_cbranch_execz .LBB26_52
; %bb.43:                               ;   in Loop: Header=BB26_32 Depth=1
	v_and_b32_e32 v10, 0x7fffffff, v2
	v_cmp_gt_u64_e32 vcc, s[10:11], v[10:11]
	s_and_saveexec_b64 s[0:1], vcc
	s_xor_b64 s[14:15], exec, s[0:1]
	s_cbranch_execz .LBB26_51
; %bb.44:                               ;   in Loop: Header=BB26_32 Depth=1
	v_cmp_ne_u32_e32 vcc, 0, v2
	v_mov_b32_e32 v6, 0
	s_and_saveexec_b64 s[16:17], vcc
	s_cbranch_execz .LBB26_50
; %bb.45:                               ;   in Loop: Header=BB26_32 Depth=1
	v_bfe_u32 v10, v2, 23, 8
	v_and_b32_e32 v6, 0x7fffff, v2
	v_sub_u32_e64 v14, s26, v10 clamp
	v_cmp_eq_u32_e32 vcc, 0, v10
	v_or_b32_e32 v15, 0x800000, v6
	v_cndmask_b32_e32 v23, v14, v18, vcc
	v_add_u32_e32 v22, 0xffffff89, v10
	v_cndmask_b32_e32 v10, v15, v6, vcc
	v_add_u32_e32 v6, 20, v23
	v_lshlrev_b64 v[14:15], v6, -1
	v_not_b32_e32 v6, v14
	v_and_b32_e32 v14, v10, v6
	v_add_u32_e32 v6, 19, v23
	v_mov_b32_e32 v15, v11
	v_lshlrev_b64 v[20:21], v6, 1
	v_cmp_eq_u64_e64 s[0:1], v[14:15], v[20:21]
	v_lshrrev_b64 v[14:15], v23, v[10:11]
	v_cndmask_b32_e32 v6, v22, v19, vcc
	v_lshrrev_b32_e32 v10, 23, v14
	v_add3_u32 v20, v6, v23, v10
	v_and_b32_e32 v10, 0x100000, v14
	v_cmp_eq_u64_e32 vcc, 0, v[10:11]
	s_and_b64 vcc, vcc, s[0:1]
	v_subbrev_co_u32_e32 v6, vcc, 0, v14, vcc
	v_and_b32_e32 v6, 0xfffff, v6
	v_add_co_u32_e32 v14, vcc, v6, v14
	v_add_u32_e32 v21, -1, v20
	v_addc_co_u32_e32 v15, vcc, 0, v15, vcc
	v_cmp_ne_u32_e32 vcc, 0, v21
                                        ; implicit-def: $vgpr6
	s_and_saveexec_b64 s[0:1], vcc
	s_xor_b64 s[0:1], exec, s[0:1]
; %bb.46:                               ;   in Loop: Header=BB26_32 Depth=1
	v_and_b32_e32 v10, 0x1000000, v14
	v_cmp_eq_u64_e32 vcc, 0, v[10:11]
	v_bfe_u32 v10, v14, 24, 1
	v_cndmask_b32_e32 v6, v20, v21, vcc
	v_lshrrev_b64 v[14:15], v10, v[14:15]
; %bb.47:                               ;   in Loop: Header=BB26_32 Depth=1
	s_andn2_saveexec_b64 s[0:1], s[0:1]
; %bb.48:                               ;   in Loop: Header=BB26_32 Depth=1
	v_bfe_u32 v6, v14, 23, 1
; %bb.49:                               ;   in Loop: Header=BB26_32 Depth=1
	s_or_b64 exec, exec, s[0:1]
	v_lshrrev_b64 v[14:15], 20, v[14:15]
	v_cmp_gt_i32_e32 vcc, 16, v6
	v_and_b32_sdwa v2, v2, s27 dst_sel:DWORD dst_unused:UNUSED_PAD src0_sel:BYTE_3 src1_sel:DWORD
	v_min_i32_e32 v10, 15, v6
	v_cndmask_b32_e32 v15, 0, v15, vcc
	v_cndmask_b32_e32 v14, 7, v14, vcc
	v_cmp_eq_u32_e32 vcc, 0, v6
	v_cmp_eq_u64_e64 s[0:1], 0, v[14:15]
	v_lshl_or_b32 v2, v10, 3, v2
	v_and_or_b32 v2, v14, 7, v2
	s_and_b64 s[0:1], vcc, s[0:1]
	v_cndmask_b32_e64 v6, v2, 0, s[0:1]
.LBB26_50:                              ;   in Loop: Header=BB26_32 Depth=1
	s_or_b64 exec, exec, s[16:17]
.LBB26_51:                              ;   in Loop: Header=BB26_32 Depth=1
	s_andn2_saveexec_b64 s[0:1], s[14:15]
	s_or_b64 exec, exec, s[0:1]
.LBB26_52:                              ;   in Loop: Header=BB26_32 Depth=1
	s_andn2_saveexec_b64 s[0:1], s[12:13]
	s_or_b64 exec, exec, s[0:1]
	v_add_u32_e32 v2, 1, v13
	global_store_byte v2, v6, s[2:3]
	v_lshlrev_b32_e32 v2, 16, v3
	v_mul_f32_e32 v2, v1, v2
	v_bfe_u32 v6, v2, 16, 1
	v_add3_u32 v6, v2, v6, s24
	v_and_b32_e32 v6, 0xffff0000, v6
	v_cmp_o_f32_e32 vcc, v2, v2
	v_cndmask_b32_e32 v2, v17, v6, vcc
	v_lshlrev_b32_e32 v6, 16, v7
	v_mul_f32_e32 v2, v2, v6
	v_bfe_u32 v6, v2, 16, 1
	v_add3_u32 v6, v2, v6, s24
	v_and_b32_e32 v6, 0xffff0000, v6
	v_cmp_o_f32_e32 vcc, v2, v2
	v_cndmask_b32_e32 v2, v17, v6, vcc
	v_mul_f32_e32 v2, v16, v2
	v_min_f32_e32 v2, 0x43600000, v2
	v_max_f32_e32 v2, 0xc3600000, v2
	v_and_b32_e32 v10, 0x7f800000, v2
	v_or_b32_sdwa v6, v2, s25 dst_sel:DWORD dst_unused:UNUSED_PAD src0_sel:BYTE_3 src1_sel:DWORD
	v_cmp_ne_u64_e32 vcc, s[6:7], v[10:11]
	s_and_saveexec_b64 s[0:1], vcc
	s_xor_b64 s[12:13], exec, s[0:1]
	s_cbranch_execz .LBB26_62
; %bb.53:                               ;   in Loop: Header=BB26_32 Depth=1
	v_and_b32_e32 v10, 0x7fffffff, v2
	v_cmp_gt_u64_e32 vcc, s[10:11], v[10:11]
	s_and_saveexec_b64 s[0:1], vcc
	s_xor_b64 s[14:15], exec, s[0:1]
	s_cbranch_execz .LBB26_61
; %bb.54:                               ;   in Loop: Header=BB26_32 Depth=1
	v_cmp_ne_u32_e32 vcc, 0, v2
	v_mov_b32_e32 v6, 0
	s_and_saveexec_b64 s[16:17], vcc
	s_cbranch_execz .LBB26_60
; %bb.55:                               ;   in Loop: Header=BB26_32 Depth=1
	v_bfe_u32 v10, v2, 23, 8
	v_and_b32_e32 v6, 0x7fffff, v2
	v_sub_u32_e64 v14, s26, v10 clamp
	v_cmp_eq_u32_e32 vcc, 0, v10
	v_or_b32_e32 v15, 0x800000, v6
	v_cndmask_b32_e32 v23, v14, v18, vcc
	v_add_u32_e32 v22, 0xffffff89, v10
	v_cndmask_b32_e32 v10, v15, v6, vcc
	v_add_u32_e32 v6, 20, v23
	v_lshlrev_b64 v[14:15], v6, -1
	v_not_b32_e32 v6, v14
	v_and_b32_e32 v14, v10, v6
	v_add_u32_e32 v6, 19, v23
	v_mov_b32_e32 v15, v11
	v_lshlrev_b64 v[20:21], v6, 1
	v_cmp_eq_u64_e64 s[0:1], v[14:15], v[20:21]
	v_lshrrev_b64 v[14:15], v23, v[10:11]
	v_cndmask_b32_e32 v6, v22, v19, vcc
	v_lshrrev_b32_e32 v10, 23, v14
	v_add3_u32 v20, v6, v23, v10
	v_and_b32_e32 v10, 0x100000, v14
	v_cmp_eq_u64_e32 vcc, 0, v[10:11]
	s_and_b64 vcc, vcc, s[0:1]
	v_subbrev_co_u32_e32 v6, vcc, 0, v14, vcc
	v_and_b32_e32 v6, 0xfffff, v6
	v_add_co_u32_e32 v14, vcc, v6, v14
	v_add_u32_e32 v21, -1, v20
	v_addc_co_u32_e32 v15, vcc, 0, v15, vcc
	v_cmp_ne_u32_e32 vcc, 0, v21
                                        ; implicit-def: $vgpr6
	s_and_saveexec_b64 s[0:1], vcc
	s_xor_b64 s[0:1], exec, s[0:1]
; %bb.56:                               ;   in Loop: Header=BB26_32 Depth=1
	v_and_b32_e32 v10, 0x1000000, v14
	v_cmp_eq_u64_e32 vcc, 0, v[10:11]
	v_bfe_u32 v10, v14, 24, 1
	v_cndmask_b32_e32 v6, v20, v21, vcc
	v_lshrrev_b64 v[14:15], v10, v[14:15]
; %bb.57:                               ;   in Loop: Header=BB26_32 Depth=1
	s_andn2_saveexec_b64 s[0:1], s[0:1]
; %bb.58:                               ;   in Loop: Header=BB26_32 Depth=1
	v_bfe_u32 v6, v14, 23, 1
; %bb.59:                               ;   in Loop: Header=BB26_32 Depth=1
	s_or_b64 exec, exec, s[0:1]
	v_lshrrev_b64 v[14:15], 20, v[14:15]
	v_cmp_gt_i32_e32 vcc, 16, v6
	v_and_b32_sdwa v2, v2, s27 dst_sel:DWORD dst_unused:UNUSED_PAD src0_sel:BYTE_3 src1_sel:DWORD
	v_min_i32_e32 v10, 15, v6
	v_cndmask_b32_e32 v15, 0, v15, vcc
	v_cndmask_b32_e32 v14, 7, v14, vcc
	v_cmp_eq_u32_e32 vcc, 0, v6
	v_cmp_eq_u64_e64 s[0:1], 0, v[14:15]
	v_lshl_or_b32 v2, v10, 3, v2
	v_and_or_b32 v2, v14, 7, v2
	s_and_b64 s[0:1], vcc, s[0:1]
	v_cndmask_b32_e64 v6, v2, 0, s[0:1]
.LBB26_60:                              ;   in Loop: Header=BB26_32 Depth=1
	s_or_b64 exec, exec, s[16:17]
.LBB26_61:                              ;   in Loop: Header=BB26_32 Depth=1
	s_andn2_saveexec_b64 s[0:1], s[14:15]
	s_or_b64 exec, exec, s[0:1]
.LBB26_62:                              ;   in Loop: Header=BB26_32 Depth=1
	s_andn2_saveexec_b64 s[0:1], s[12:13]
	s_or_b64 exec, exec, s[0:1]
	v_add_u32_e32 v2, 2, v13
	global_store_byte v2, v6, s[2:3]
	v_and_b32_e32 v2, 0xffff0000, v3
	v_mul_f32_e32 v2, v1, v2
	v_bfe_u32 v3, v2, 16, 1
	v_add3_u32 v3, v2, v3, s24
	v_and_b32_e32 v3, 0xffff0000, v3
	v_cmp_o_f32_e32 vcc, v2, v2
	v_cndmask_b32_e32 v2, v17, v3, vcc
	v_and_b32_e32 v3, 0xffff0000, v7
	v_mul_f32_e32 v2, v2, v3
	v_bfe_u32 v3, v2, 16, 1
	v_add3_u32 v3, v2, v3, s24
	v_and_b32_e32 v3, 0xffff0000, v3
	v_cmp_o_f32_e32 vcc, v2, v2
	v_cndmask_b32_e32 v2, v17, v3, vcc
	v_mul_f32_e32 v2, v16, v2
	v_min_f32_e32 v2, 0x43600000, v2
	v_max_f32_e32 v6, 0xc3600000, v2
	v_and_b32_e32 v10, 0x7f800000, v6
	v_or_b32_sdwa v2, v6, s25 dst_sel:DWORD dst_unused:UNUSED_PAD src0_sel:BYTE_3 src1_sel:DWORD
	v_cmp_ne_u64_e32 vcc, s[6:7], v[10:11]
	s_and_saveexec_b64 s[0:1], vcc
	s_xor_b64 s[12:13], exec, s[0:1]
	s_cbranch_execz .LBB26_72
; %bb.63:                               ;   in Loop: Header=BB26_32 Depth=1
	v_and_b32_e32 v10, 0x7fffffff, v6
	v_cmp_gt_u64_e32 vcc, s[10:11], v[10:11]
	s_and_saveexec_b64 s[0:1], vcc
	s_xor_b64 s[14:15], exec, s[0:1]
	s_cbranch_execz .LBB26_71
; %bb.64:                               ;   in Loop: Header=BB26_32 Depth=1
	v_cmp_ne_u32_e32 vcc, 0, v6
	v_mov_b32_e32 v2, 0
	s_and_saveexec_b64 s[16:17], vcc
	s_cbranch_execz .LBB26_70
; %bb.65:                               ;   in Loop: Header=BB26_32 Depth=1
	v_bfe_u32 v3, v6, 23, 8
	v_and_b32_e32 v2, 0x7fffff, v6
	v_sub_u32_e64 v7, s26, v3 clamp
	v_cmp_eq_u32_e32 vcc, 0, v3
	v_or_b32_e32 v10, 0x800000, v2
	v_cndmask_b32_e32 v7, v7, v18, vcc
	v_cndmask_b32_e32 v10, v10, v2, vcc
	v_add_u32_e32 v2, 20, v7
	v_add_u32_e32 v20, 0xffffff89, v3
	v_lshlrev_b64 v[2:3], v2, -1
	v_not_b32_e32 v2, v2
	v_add_u32_e32 v14, 19, v7
	v_and_b32_e32 v2, v10, v2
	v_mov_b32_e32 v3, v11
	v_lshlrev_b64 v[14:15], v14, 1
	v_cmp_eq_u64_e64 s[0:1], v[2:3], v[14:15]
	v_lshrrev_b64 v[2:3], v7, v[10:11]
	v_cndmask_b32_e32 v10, v20, v19, vcc
	v_lshrrev_b32_e32 v14, 23, v2
	v_add3_u32 v14, v10, v7, v14
	v_and_b32_e32 v10, 0x100000, v2
	v_cmp_eq_u64_e32 vcc, 0, v[10:11]
	s_and_b64 vcc, vcc, s[0:1]
	v_subbrev_co_u32_e32 v7, vcc, 0, v2, vcc
	v_and_b32_e32 v7, 0xfffff, v7
	v_add_co_u32_e32 v2, vcc, v7, v2
	v_add_u32_e32 v15, -1, v14
	v_addc_co_u32_e32 v3, vcc, 0, v3, vcc
	v_cmp_ne_u32_e32 vcc, 0, v15
                                        ; implicit-def: $vgpr7
	s_and_saveexec_b64 s[0:1], vcc
	s_xor_b64 s[0:1], exec, s[0:1]
; %bb.66:                               ;   in Loop: Header=BB26_32 Depth=1
	v_and_b32_e32 v10, 0x1000000, v2
	v_cmp_eq_u64_e32 vcc, 0, v[10:11]
	v_bfe_u32 v10, v2, 24, 1
	v_cndmask_b32_e32 v7, v14, v15, vcc
	v_lshrrev_b64 v[2:3], v10, v[2:3]
; %bb.67:                               ;   in Loop: Header=BB26_32 Depth=1
	s_andn2_saveexec_b64 s[0:1], s[0:1]
; %bb.68:                               ;   in Loop: Header=BB26_32 Depth=1
	v_bfe_u32 v7, v2, 23, 1
; %bb.69:                               ;   in Loop: Header=BB26_32 Depth=1
	s_or_b64 exec, exec, s[0:1]
	v_lshrrev_b64 v[2:3], 20, v[2:3]
	v_cmp_gt_i32_e32 vcc, 16, v7
	v_and_b32_sdwa v6, v6, s27 dst_sel:DWORD dst_unused:UNUSED_PAD src0_sel:BYTE_3 src1_sel:DWORD
	v_min_i32_e32 v10, 15, v7
	v_cndmask_b32_e32 v3, 0, v3, vcc
	v_cndmask_b32_e32 v2, 7, v2, vcc
	v_cmp_eq_u32_e32 vcc, 0, v7
	v_cmp_eq_u64_e64 s[0:1], 0, v[2:3]
	v_lshl_or_b32 v3, v10, 3, v6
	v_and_or_b32 v2, v2, 7, v3
	s_and_b64 s[0:1], vcc, s[0:1]
	v_cndmask_b32_e64 v2, v2, 0, s[0:1]
.LBB26_70:                              ;   in Loop: Header=BB26_32 Depth=1
	s_or_b64 exec, exec, s[16:17]
.LBB26_71:                              ;   in Loop: Header=BB26_32 Depth=1
	s_andn2_saveexec_b64 s[0:1], s[14:15]
	s_or_b64 exec, exec, s[0:1]
.LBB26_72:                              ;   in Loop: Header=BB26_32 Depth=1
	s_andn2_saveexec_b64 s[0:1], s[12:13]
	s_or_b64 exec, exec, s[0:1]
	v_add_u32_e32 v3, 3, v13
	global_store_byte v3, v2, s[2:3]
	v_lshlrev_b32_e32 v2, 16, v4
	v_mul_f32_e32 v2, v1, v2
	v_bfe_u32 v3, v2, 16, 1
	v_add3_u32 v3, v2, v3, s24
	v_and_b32_e32 v3, 0xffff0000, v3
	v_cmp_o_f32_e32 vcc, v2, v2
	v_cndmask_b32_e32 v2, v17, v3, vcc
	v_lshlrev_b32_e32 v3, 16, v8
	v_mul_f32_e32 v2, v2, v3
	v_bfe_u32 v3, v2, 16, 1
	v_add3_u32 v3, v2, v3, s24
	v_and_b32_e32 v3, 0xffff0000, v3
	v_cmp_o_f32_e32 vcc, v2, v2
	v_cndmask_b32_e32 v2, v17, v3, vcc
	v_mul_f32_e32 v2, v16, v2
	v_min_f32_e32 v2, 0x43600000, v2
	v_max_f32_e32 v6, 0xc3600000, v2
	v_and_b32_e32 v10, 0x7f800000, v6
	v_or_b32_sdwa v2, v6, s25 dst_sel:DWORD dst_unused:UNUSED_PAD src0_sel:BYTE_3 src1_sel:DWORD
	v_cmp_ne_u64_e32 vcc, s[6:7], v[10:11]
	s_and_saveexec_b64 s[0:1], vcc
	s_xor_b64 s[12:13], exec, s[0:1]
	s_cbranch_execz .LBB26_82
; %bb.73:                               ;   in Loop: Header=BB26_32 Depth=1
	v_and_b32_e32 v10, 0x7fffffff, v6
	v_cmp_gt_u64_e32 vcc, s[10:11], v[10:11]
	s_and_saveexec_b64 s[0:1], vcc
	s_xor_b64 s[14:15], exec, s[0:1]
	s_cbranch_execz .LBB26_81
; %bb.74:                               ;   in Loop: Header=BB26_32 Depth=1
	v_cmp_ne_u32_e32 vcc, 0, v6
	v_mov_b32_e32 v2, 0
	s_and_saveexec_b64 s[16:17], vcc
	s_cbranch_execz .LBB26_80
; %bb.75:                               ;   in Loop: Header=BB26_32 Depth=1
	v_bfe_u32 v3, v6, 23, 8
	v_and_b32_e32 v2, 0x7fffff, v6
	v_sub_u32_e64 v7, s26, v3 clamp
	v_cmp_eq_u32_e32 vcc, 0, v3
	v_or_b32_e32 v10, 0x800000, v2
	v_cndmask_b32_e32 v7, v7, v18, vcc
	v_cndmask_b32_e32 v10, v10, v2, vcc
	v_add_u32_e32 v2, 20, v7
	v_add_u32_e32 v20, 0xffffff89, v3
	v_lshlrev_b64 v[2:3], v2, -1
	v_not_b32_e32 v2, v2
	v_add_u32_e32 v14, 19, v7
	v_and_b32_e32 v2, v10, v2
	v_mov_b32_e32 v3, v11
	v_lshlrev_b64 v[14:15], v14, 1
	v_cmp_eq_u64_e64 s[0:1], v[2:3], v[14:15]
	v_lshrrev_b64 v[2:3], v7, v[10:11]
	v_cndmask_b32_e32 v10, v20, v19, vcc
	v_lshrrev_b32_e32 v14, 23, v2
	v_add3_u32 v14, v10, v7, v14
	v_and_b32_e32 v10, 0x100000, v2
	v_cmp_eq_u64_e32 vcc, 0, v[10:11]
	s_and_b64 vcc, vcc, s[0:1]
	v_subbrev_co_u32_e32 v7, vcc, 0, v2, vcc
	v_and_b32_e32 v7, 0xfffff, v7
	v_add_co_u32_e32 v2, vcc, v7, v2
	v_add_u32_e32 v15, -1, v14
	v_addc_co_u32_e32 v3, vcc, 0, v3, vcc
	v_cmp_ne_u32_e32 vcc, 0, v15
                                        ; implicit-def: $vgpr7
	s_and_saveexec_b64 s[0:1], vcc
	s_xor_b64 s[0:1], exec, s[0:1]
; %bb.76:                               ;   in Loop: Header=BB26_32 Depth=1
	v_and_b32_e32 v10, 0x1000000, v2
	v_cmp_eq_u64_e32 vcc, 0, v[10:11]
	v_bfe_u32 v10, v2, 24, 1
	v_cndmask_b32_e32 v7, v14, v15, vcc
	v_lshrrev_b64 v[2:3], v10, v[2:3]
; %bb.77:                               ;   in Loop: Header=BB26_32 Depth=1
	s_andn2_saveexec_b64 s[0:1], s[0:1]
; %bb.78:                               ;   in Loop: Header=BB26_32 Depth=1
	v_bfe_u32 v7, v2, 23, 1
; %bb.79:                               ;   in Loop: Header=BB26_32 Depth=1
	s_or_b64 exec, exec, s[0:1]
	v_lshrrev_b64 v[2:3], 20, v[2:3]
	v_cmp_gt_i32_e32 vcc, 16, v7
	v_and_b32_sdwa v6, v6, s27 dst_sel:DWORD dst_unused:UNUSED_PAD src0_sel:BYTE_3 src1_sel:DWORD
	v_min_i32_e32 v10, 15, v7
	v_cndmask_b32_e32 v3, 0, v3, vcc
	v_cndmask_b32_e32 v2, 7, v2, vcc
	v_cmp_eq_u32_e32 vcc, 0, v7
	v_cmp_eq_u64_e64 s[0:1], 0, v[2:3]
	v_lshl_or_b32 v3, v10, 3, v6
	v_and_or_b32 v2, v2, 7, v3
	s_and_b64 s[0:1], vcc, s[0:1]
	v_cndmask_b32_e64 v2, v2, 0, s[0:1]
.LBB26_80:                              ;   in Loop: Header=BB26_32 Depth=1
	s_or_b64 exec, exec, s[16:17]
.LBB26_81:                              ;   in Loop: Header=BB26_32 Depth=1
	s_andn2_saveexec_b64 s[0:1], s[14:15]
	s_or_b64 exec, exec, s[0:1]
.LBB26_82:                              ;   in Loop: Header=BB26_32 Depth=1
	s_andn2_saveexec_b64 s[0:1], s[12:13]
	s_or_b64 exec, exec, s[0:1]
	v_add_u32_e32 v3, 4, v13
	global_store_byte v3, v2, s[2:3]
	v_and_b32_e32 v2, 0xffff0000, v4
	v_mul_f32_e32 v2, v1, v2
	v_bfe_u32 v3, v2, 16, 1
	v_add3_u32 v3, v2, v3, s24
	v_and_b32_e32 v3, 0xffff0000, v3
	v_cmp_o_f32_e32 vcc, v2, v2
	v_cndmask_b32_e32 v2, v17, v3, vcc
	v_and_b32_e32 v3, 0xffff0000, v8
	v_mul_f32_e32 v2, v2, v3
	v_bfe_u32 v3, v2, 16, 1
	v_add3_u32 v3, v2, v3, s24
	v_and_b32_e32 v3, 0xffff0000, v3
	v_cmp_o_f32_e32 vcc, v2, v2
	v_cndmask_b32_e32 v2, v17, v3, vcc
	v_mul_f32_e32 v2, v16, v2
	v_min_f32_e32 v2, 0x43600000, v2
	v_max_f32_e32 v4, 0xc3600000, v2
	v_and_b32_e32 v10, 0x7f800000, v4
	v_or_b32_sdwa v2, v4, s25 dst_sel:DWORD dst_unused:UNUSED_PAD src0_sel:BYTE_3 src1_sel:DWORD
	v_cmp_ne_u64_e32 vcc, s[6:7], v[10:11]
	s_and_saveexec_b64 s[0:1], vcc
	s_xor_b64 s[12:13], exec, s[0:1]
	s_cbranch_execz .LBB26_92
; %bb.83:                               ;   in Loop: Header=BB26_32 Depth=1
	v_and_b32_e32 v10, 0x7fffffff, v4
	v_cmp_gt_u64_e32 vcc, s[10:11], v[10:11]
	s_and_saveexec_b64 s[0:1], vcc
	s_xor_b64 s[14:15], exec, s[0:1]
	s_cbranch_execz .LBB26_91
; %bb.84:                               ;   in Loop: Header=BB26_32 Depth=1
	v_cmp_ne_u32_e32 vcc, 0, v4
	v_mov_b32_e32 v2, 0
	s_and_saveexec_b64 s[16:17], vcc
	s_cbranch_execz .LBB26_90
; %bb.85:                               ;   in Loop: Header=BB26_32 Depth=1
	v_bfe_u32 v3, v4, 23, 8
	v_and_b32_e32 v2, 0x7fffff, v4
	v_sub_u32_e64 v6, s26, v3 clamp
	v_cmp_eq_u32_e32 vcc, 0, v3
	v_or_b32_e32 v7, 0x800000, v2
	v_cndmask_b32_e32 v14, v6, v18, vcc
	v_cndmask_b32_e32 v10, v7, v2, vcc
	v_add_u32_e32 v2, 20, v14
	v_add_u32_e32 v8, 0xffffff89, v3
	v_lshlrev_b64 v[2:3], v2, -1
	v_not_b32_e32 v2, v2
	v_add_u32_e32 v6, 19, v14
	v_and_b32_e32 v2, v10, v2
	v_mov_b32_e32 v3, v11
	v_lshlrev_b64 v[6:7], v6, 1
	v_cmp_eq_u64_e64 s[0:1], v[2:3], v[6:7]
	v_lshrrev_b64 v[2:3], v14, v[10:11]
	v_and_b32_e32 v10, 0x100000, v2
	v_cndmask_b32_e32 v6, v8, v19, vcc
	v_cmp_eq_u64_e32 vcc, 0, v[10:11]
	v_lshrrev_b32_e32 v7, 23, v2
	s_and_b64 vcc, vcc, s[0:1]
	v_add3_u32 v7, v6, v14, v7
	v_subbrev_co_u32_e32 v6, vcc, 0, v2, vcc
	v_and_b32_e32 v6, 0xfffff, v6
	v_add_co_u32_e32 v2, vcc, v6, v2
	v_add_u32_e32 v8, -1, v7
	v_addc_co_u32_e32 v3, vcc, 0, v3, vcc
	v_cmp_ne_u32_e32 vcc, 0, v8
                                        ; implicit-def: $vgpr6
	s_and_saveexec_b64 s[0:1], vcc
	s_xor_b64 s[0:1], exec, s[0:1]
; %bb.86:                               ;   in Loop: Header=BB26_32 Depth=1
	v_and_b32_e32 v10, 0x1000000, v2
	v_cmp_eq_u64_e32 vcc, 0, v[10:11]
	v_cndmask_b32_e32 v6, v7, v8, vcc
	v_bfe_u32 v7, v2, 24, 1
	v_lshrrev_b64 v[2:3], v7, v[2:3]
; %bb.87:                               ;   in Loop: Header=BB26_32 Depth=1
	s_andn2_saveexec_b64 s[0:1], s[0:1]
; %bb.88:                               ;   in Loop: Header=BB26_32 Depth=1
	v_bfe_u32 v6, v2, 23, 1
; %bb.89:                               ;   in Loop: Header=BB26_32 Depth=1
	s_or_b64 exec, exec, s[0:1]
	v_lshrrev_b64 v[2:3], 20, v[2:3]
	v_cmp_gt_i32_e32 vcc, 16, v6
	v_and_b32_sdwa v4, v4, s27 dst_sel:DWORD dst_unused:UNUSED_PAD src0_sel:BYTE_3 src1_sel:DWORD
	v_min_i32_e32 v7, 15, v6
	v_cndmask_b32_e32 v3, 0, v3, vcc
	v_cndmask_b32_e32 v2, 7, v2, vcc
	v_cmp_eq_u32_e32 vcc, 0, v6
	v_cmp_eq_u64_e64 s[0:1], 0, v[2:3]
	v_lshl_or_b32 v3, v7, 3, v4
	v_and_or_b32 v2, v2, 7, v3
	s_and_b64 s[0:1], vcc, s[0:1]
	v_cndmask_b32_e64 v2, v2, 0, s[0:1]
.LBB26_90:                              ;   in Loop: Header=BB26_32 Depth=1
	s_or_b64 exec, exec, s[16:17]
.LBB26_91:                              ;   in Loop: Header=BB26_32 Depth=1
	s_andn2_saveexec_b64 s[0:1], s[14:15]
	s_or_b64 exec, exec, s[0:1]
.LBB26_92:                              ;   in Loop: Header=BB26_32 Depth=1
	s_andn2_saveexec_b64 s[0:1], s[12:13]
	s_or_b64 exec, exec, s[0:1]
	v_add_u32_e32 v3, 5, v13
	global_store_byte v3, v2, s[2:3]
	v_lshlrev_b32_e32 v2, 16, v5
	v_mul_f32_e32 v2, v1, v2
	v_bfe_u32 v3, v2, 16, 1
	v_add3_u32 v3, v2, v3, s24
	v_and_b32_e32 v3, 0xffff0000, v3
	v_cmp_o_f32_e32 vcc, v2, v2
	v_cndmask_b32_e32 v2, v17, v3, vcc
	v_lshlrev_b32_e32 v3, 16, v9
	v_mul_f32_e32 v2, v2, v3
	v_bfe_u32 v3, v2, 16, 1
	v_add3_u32 v3, v2, v3, s24
	v_and_b32_e32 v3, 0xffff0000, v3
	v_cmp_o_f32_e32 vcc, v2, v2
	v_cndmask_b32_e32 v2, v17, v3, vcc
	v_mul_f32_e32 v2, v16, v2
	v_min_f32_e32 v2, 0x43600000, v2
	v_max_f32_e32 v4, 0xc3600000, v2
	v_and_b32_e32 v10, 0x7f800000, v4
	v_or_b32_sdwa v2, v4, s25 dst_sel:DWORD dst_unused:UNUSED_PAD src0_sel:BYTE_3 src1_sel:DWORD
	v_cmp_ne_u64_e32 vcc, s[6:7], v[10:11]
	s_and_saveexec_b64 s[0:1], vcc
	s_xor_b64 s[12:13], exec, s[0:1]
	s_cbranch_execz .LBB26_102
; %bb.93:                               ;   in Loop: Header=BB26_32 Depth=1
	v_and_b32_e32 v10, 0x7fffffff, v4
	v_cmp_gt_u64_e32 vcc, s[10:11], v[10:11]
	s_and_saveexec_b64 s[0:1], vcc
	s_xor_b64 s[14:15], exec, s[0:1]
	s_cbranch_execz .LBB26_101
; %bb.94:                               ;   in Loop: Header=BB26_32 Depth=1
	v_cmp_ne_u32_e32 vcc, 0, v4
	v_mov_b32_e32 v2, 0
	s_and_saveexec_b64 s[16:17], vcc
	s_cbranch_execz .LBB26_100
; %bb.95:                               ;   in Loop: Header=BB26_32 Depth=1
	v_bfe_u32 v3, v4, 23, 8
	v_and_b32_e32 v2, 0x7fffff, v4
	v_sub_u32_e64 v6, s26, v3 clamp
	v_cmp_eq_u32_e32 vcc, 0, v3
	v_or_b32_e32 v7, 0x800000, v2
	v_cndmask_b32_e32 v14, v6, v18, vcc
	v_cndmask_b32_e32 v10, v7, v2, vcc
	v_add_u32_e32 v2, 20, v14
	v_add_u32_e32 v8, 0xffffff89, v3
	v_lshlrev_b64 v[2:3], v2, -1
	v_not_b32_e32 v2, v2
	v_add_u32_e32 v6, 19, v14
	v_and_b32_e32 v2, v10, v2
	v_mov_b32_e32 v3, v11
	v_lshlrev_b64 v[6:7], v6, 1
	v_cmp_eq_u64_e64 s[0:1], v[2:3], v[6:7]
	v_lshrrev_b64 v[2:3], v14, v[10:11]
	v_and_b32_e32 v10, 0x100000, v2
	v_cndmask_b32_e32 v6, v8, v19, vcc
	v_cmp_eq_u64_e32 vcc, 0, v[10:11]
	v_lshrrev_b32_e32 v7, 23, v2
	s_and_b64 vcc, vcc, s[0:1]
	v_add3_u32 v7, v6, v14, v7
	v_subbrev_co_u32_e32 v6, vcc, 0, v2, vcc
	v_and_b32_e32 v6, 0xfffff, v6
	v_add_co_u32_e32 v2, vcc, v6, v2
	v_add_u32_e32 v8, -1, v7
	v_addc_co_u32_e32 v3, vcc, 0, v3, vcc
	v_cmp_ne_u32_e32 vcc, 0, v8
                                        ; implicit-def: $vgpr6
	s_and_saveexec_b64 s[0:1], vcc
	s_xor_b64 s[0:1], exec, s[0:1]
; %bb.96:                               ;   in Loop: Header=BB26_32 Depth=1
	v_and_b32_e32 v10, 0x1000000, v2
	v_cmp_eq_u64_e32 vcc, 0, v[10:11]
	v_cndmask_b32_e32 v6, v7, v8, vcc
	v_bfe_u32 v7, v2, 24, 1
	v_lshrrev_b64 v[2:3], v7, v[2:3]
; %bb.97:                               ;   in Loop: Header=BB26_32 Depth=1
	s_andn2_saveexec_b64 s[0:1], s[0:1]
; %bb.98:                               ;   in Loop: Header=BB26_32 Depth=1
	v_bfe_u32 v6, v2, 23, 1
; %bb.99:                               ;   in Loop: Header=BB26_32 Depth=1
	s_or_b64 exec, exec, s[0:1]
	v_lshrrev_b64 v[2:3], 20, v[2:3]
	v_cmp_gt_i32_e32 vcc, 16, v6
	v_and_b32_sdwa v4, v4, s27 dst_sel:DWORD dst_unused:UNUSED_PAD src0_sel:BYTE_3 src1_sel:DWORD
	v_min_i32_e32 v7, 15, v6
	v_cndmask_b32_e32 v3, 0, v3, vcc
	v_cndmask_b32_e32 v2, 7, v2, vcc
	v_cmp_eq_u32_e32 vcc, 0, v6
	v_cmp_eq_u64_e64 s[0:1], 0, v[2:3]
	v_lshl_or_b32 v3, v7, 3, v4
	v_and_or_b32 v2, v2, 7, v3
	s_and_b64 s[0:1], vcc, s[0:1]
	v_cndmask_b32_e64 v2, v2, 0, s[0:1]
.LBB26_100:                             ;   in Loop: Header=BB26_32 Depth=1
	s_or_b64 exec, exec, s[16:17]
.LBB26_101:                             ;   in Loop: Header=BB26_32 Depth=1
	s_andn2_saveexec_b64 s[0:1], s[14:15]
	s_or_b64 exec, exec, s[0:1]
.LBB26_102:                             ;   in Loop: Header=BB26_32 Depth=1
	s_andn2_saveexec_b64 s[0:1], s[12:13]
	s_or_b64 exec, exec, s[0:1]
	v_add_u32_e32 v3, 6, v13
	global_store_byte v3, v2, s[2:3]
	v_and_b32_e32 v2, 0xffff0000, v5
	v_mul_f32_e32 v2, v1, v2
	v_bfe_u32 v3, v2, 16, 1
	v_add3_u32 v3, v2, v3, s24
	v_and_b32_e32 v3, 0xffff0000, v3
	v_cmp_o_f32_e32 vcc, v2, v2
	v_cndmask_b32_e32 v2, v17, v3, vcc
	v_and_b32_e32 v3, 0xffff0000, v9
	v_mul_f32_e32 v2, v2, v3
	v_bfe_u32 v3, v2, 16, 1
	v_add3_u32 v3, v2, v3, s24
	v_and_b32_e32 v3, 0xffff0000, v3
	v_cmp_o_f32_e32 vcc, v2, v2
	v_cndmask_b32_e32 v2, v17, v3, vcc
	v_mul_f32_e32 v2, v16, v2
	v_min_f32_e32 v2, 0x43600000, v2
	v_max_f32_e32 v4, 0xc3600000, v2
	v_and_b32_e32 v10, 0x7f800000, v4
	v_or_b32_sdwa v2, v4, s25 dst_sel:DWORD dst_unused:UNUSED_PAD src0_sel:BYTE_3 src1_sel:DWORD
	v_cmp_ne_u64_e32 vcc, s[6:7], v[10:11]
	s_and_saveexec_b64 s[0:1], vcc
	s_xor_b64 s[12:13], exec, s[0:1]
	s_cbranch_execz .LBB26_31
; %bb.103:                              ;   in Loop: Header=BB26_32 Depth=1
	v_and_b32_e32 v10, 0x7fffffff, v4
	v_cmp_gt_u64_e32 vcc, s[10:11], v[10:11]
	s_and_saveexec_b64 s[0:1], vcc
	s_xor_b64 s[14:15], exec, s[0:1]
	s_cbranch_execz .LBB26_30
; %bb.104:                              ;   in Loop: Header=BB26_32 Depth=1
	v_cmp_ne_u32_e32 vcc, 0, v4
	v_mov_b32_e32 v2, 0
	s_and_saveexec_b64 s[16:17], vcc
	s_cbranch_execz .LBB26_29
; %bb.105:                              ;   in Loop: Header=BB26_32 Depth=1
	v_bfe_u32 v3, v4, 23, 8
	v_and_b32_e32 v2, 0x7fffff, v4
	v_sub_u32_e64 v5, s26, v3 clamp
	v_cmp_eq_u32_e32 vcc, 0, v3
	v_or_b32_e32 v6, 0x800000, v2
	v_cndmask_b32_e32 v5, v5, v18, vcc
	v_cndmask_b32_e32 v10, v6, v2, vcc
	v_add_u32_e32 v2, 20, v5
	v_add_u32_e32 v8, 0xffffff89, v3
	v_lshlrev_b64 v[2:3], v2, -1
	v_not_b32_e32 v2, v2
	v_add_u32_e32 v6, 19, v5
	v_and_b32_e32 v2, v10, v2
	v_mov_b32_e32 v3, v11
	v_lshlrev_b64 v[6:7], v6, 1
	v_cmp_eq_u64_e64 s[0:1], v[2:3], v[6:7]
	v_lshrrev_b64 v[2:3], v5, v[10:11]
	v_and_b32_e32 v10, 0x100000, v2
	v_cndmask_b32_e32 v6, v8, v19, vcc
	v_cmp_eq_u64_e32 vcc, 0, v[10:11]
	v_lshrrev_b32_e32 v7, 23, v2
	s_and_b64 vcc, vcc, s[0:1]
	v_add3_u32 v6, v6, v5, v7
	v_subbrev_co_u32_e32 v5, vcc, 0, v2, vcc
	v_and_b32_e32 v5, 0xfffff, v5
	v_add_co_u32_e32 v2, vcc, v5, v2
	v_add_u32_e32 v7, -1, v6
	v_addc_co_u32_e32 v3, vcc, 0, v3, vcc
	v_cmp_ne_u32_e32 vcc, 0, v7
                                        ; implicit-def: $vgpr5
	s_and_saveexec_b64 s[0:1], vcc
	s_xor_b64 s[0:1], exec, s[0:1]
; %bb.106:                              ;   in Loop: Header=BB26_32 Depth=1
	v_and_b32_e32 v10, 0x1000000, v2
	v_cmp_eq_u64_e32 vcc, 0, v[10:11]
	v_cndmask_b32_e32 v5, v6, v7, vcc
	v_bfe_u32 v6, v2, 24, 1
	v_lshrrev_b64 v[2:3], v6, v[2:3]
; %bb.107:                              ;   in Loop: Header=BB26_32 Depth=1
	s_andn2_saveexec_b64 s[0:1], s[0:1]
	s_cbranch_execz .LBB26_28
; %bb.108:                              ;   in Loop: Header=BB26_32 Depth=1
	v_bfe_u32 v5, v2, 23, 1
	s_branch .LBB26_28
.LBB26_109:
	s_endpgm
	.section	.rodata,"a",@progbits
	.p2align	6, 0x0
	.amdhsa_kernel _ZN4vllm32rms_norm_static_fp8_quant_kernelIN3c108BFloat16ENS1_15Float8_e4m3fnuzELi8EEEvPT0_PKT_iS8_PKffii
		.amdhsa_group_segment_fixed_size 68
		.amdhsa_private_segment_fixed_size 0
		.amdhsa_kernarg_size 312
		.amdhsa_user_sgpr_count 6
		.amdhsa_user_sgpr_private_segment_buffer 1
		.amdhsa_user_sgpr_dispatch_ptr 0
		.amdhsa_user_sgpr_queue_ptr 0
		.amdhsa_user_sgpr_kernarg_segment_ptr 1
		.amdhsa_user_sgpr_dispatch_id 0
		.amdhsa_user_sgpr_flat_scratch_init 0
		.amdhsa_user_sgpr_kernarg_preload_length 0
		.amdhsa_user_sgpr_kernarg_preload_offset 0
		.amdhsa_user_sgpr_private_segment_size 0
		.amdhsa_uses_dynamic_stack 0
		.amdhsa_system_sgpr_private_segment_wavefront_offset 0
		.amdhsa_system_sgpr_workgroup_id_x 1
		.amdhsa_system_sgpr_workgroup_id_y 0
		.amdhsa_system_sgpr_workgroup_id_z 0
		.amdhsa_system_sgpr_workgroup_info 0
		.amdhsa_system_vgpr_workitem_id 0
		.amdhsa_next_free_vgpr 26
		.amdhsa_next_free_sgpr 28
		.amdhsa_accum_offset 28
		.amdhsa_reserve_vcc 1
		.amdhsa_reserve_flat_scratch 0
		.amdhsa_float_round_mode_32 0
		.amdhsa_float_round_mode_16_64 0
		.amdhsa_float_denorm_mode_32 3
		.amdhsa_float_denorm_mode_16_64 3
		.amdhsa_dx10_clamp 1
		.amdhsa_ieee_mode 1
		.amdhsa_fp16_overflow 0
		.amdhsa_tg_split 0
		.amdhsa_exception_fp_ieee_invalid_op 0
		.amdhsa_exception_fp_denorm_src 0
		.amdhsa_exception_fp_ieee_div_zero 0
		.amdhsa_exception_fp_ieee_overflow 0
		.amdhsa_exception_fp_ieee_underflow 0
		.amdhsa_exception_fp_ieee_inexact 0
		.amdhsa_exception_int_div_zero 0
	.end_amdhsa_kernel
	.section	.text._ZN4vllm32rms_norm_static_fp8_quant_kernelIN3c108BFloat16ENS1_15Float8_e4m3fnuzELi8EEEvPT0_PKT_iS8_PKffii,"axG",@progbits,_ZN4vllm32rms_norm_static_fp8_quant_kernelIN3c108BFloat16ENS1_15Float8_e4m3fnuzELi8EEEvPT0_PKT_iS8_PKffii,comdat
.Lfunc_end26:
	.size	_ZN4vllm32rms_norm_static_fp8_quant_kernelIN3c108BFloat16ENS1_15Float8_e4m3fnuzELi8EEEvPT0_PKT_iS8_PKffii, .Lfunc_end26-_ZN4vllm32rms_norm_static_fp8_quant_kernelIN3c108BFloat16ENS1_15Float8_e4m3fnuzELi8EEEvPT0_PKT_iS8_PKffii
                                        ; -- End function
	.section	.AMDGPU.csdata,"",@progbits
; Kernel info:
; codeLenInByte = 6028
; NumSgprs: 32
; NumVgprs: 26
; NumAgprs: 0
; TotalNumVgprs: 26
; ScratchSize: 0
; MemoryBound: 0
; FloatMode: 240
; IeeeMode: 1
; LDSByteSize: 68 bytes/workgroup (compile time only)
; SGPRBlocks: 3
; VGPRBlocks: 3
; NumSGPRsForWavesPerEU: 32
; NumVGPRsForWavesPerEU: 26
; AccumOffset: 28
; Occupancy: 8
; WaveLimiterHint : 0
; COMPUTE_PGM_RSRC2:SCRATCH_EN: 0
; COMPUTE_PGM_RSRC2:USER_SGPR: 6
; COMPUTE_PGM_RSRC2:TRAP_HANDLER: 0
; COMPUTE_PGM_RSRC2:TGID_X_EN: 1
; COMPUTE_PGM_RSRC2:TGID_Y_EN: 0
; COMPUTE_PGM_RSRC2:TGID_Z_EN: 0
; COMPUTE_PGM_RSRC2:TIDIG_COMP_CNT: 0
; COMPUTE_PGM_RSRC3_GFX90A:ACCUM_OFFSET: 6
; COMPUTE_PGM_RSRC3_GFX90A:TG_SPLIT: 0
	.section	.text._ZN4vllm32rms_norm_static_fp8_quant_kernelIN3c108BFloat16ENS1_15Float8_e4m3fnuzELi4EEEvPT0_PKT_iS8_PKffii,"axG",@progbits,_ZN4vllm32rms_norm_static_fp8_quant_kernelIN3c108BFloat16ENS1_15Float8_e4m3fnuzELi4EEEvPT0_PKT_iS8_PKffii,comdat
	.protected	_ZN4vllm32rms_norm_static_fp8_quant_kernelIN3c108BFloat16ENS1_15Float8_e4m3fnuzELi4EEEvPT0_PKT_iS8_PKffii ; -- Begin function _ZN4vllm32rms_norm_static_fp8_quant_kernelIN3c108BFloat16ENS1_15Float8_e4m3fnuzELi4EEEvPT0_PKT_iS8_PKffii
	.globl	_ZN4vllm32rms_norm_static_fp8_quant_kernelIN3c108BFloat16ENS1_15Float8_e4m3fnuzELi4EEEvPT0_PKT_iS8_PKffii
	.p2align	8
	.type	_ZN4vllm32rms_norm_static_fp8_quant_kernelIN3c108BFloat16ENS1_15Float8_e4m3fnuzELi4EEEvPT0_PKT_iS8_PKffii,@function
_ZN4vllm32rms_norm_static_fp8_quant_kernelIN3c108BFloat16ENS1_15Float8_e4m3fnuzELi4EEEvPT0_PKT_iS8_PKffii: ; @_ZN4vllm32rms_norm_static_fp8_quant_kernelIN3c108BFloat16ENS1_15Float8_e4m3fnuzELi4EEEvPT0_PKT_iS8_PKffii
; %bb.0:
	s_load_dword s2, s[4:5], 0x10
	s_load_dwordx2 s[0:1], s[4:5], 0x8
	s_load_dword s14, s[4:5], 0x30
	s_load_dword s10, s[4:5], 0x44
	s_mov_b32 s9, 0
	s_waitcnt lgkmcnt(0)
	s_mul_i32 s8, s6, s2
	s_lshl_b64 s[2:3], s[8:9], 1
	s_add_u32 s18, s0, s2
	s_addc_u32 s7, s1, s3
	s_and_b32 s19, s10, 0xffff
	s_and_b32 s8, s18, 7
	s_cmp_lg_u64 s[8:9], 0
	s_cselect_b64 s[8:9], -1, 0
	s_and_b32 s10, s14, 3
	s_cmp_lg_u32 s10, 0
	s_cselect_b64 s[10:11], -1, 0
	s_or_b64 s[8:9], s[8:9], s[10:11]
	s_and_b64 vcc, exec, s[8:9]
	s_cbranch_vccz .LBB27_14
; %bb.1:
	s_sub_i32 s8, 0, s18
	s_bfe_u32 s8, s8, 0x20001
	s_min_i32 s8, s8, s14
	v_cmp_gt_i32_e32 vcc, s8, v0
	v_mov_b32_e32 v1, 0
	s_and_saveexec_b64 s[10:11], vcc
	s_cbranch_execz .LBB27_5
; %bb.2:
	s_add_u32 s9, s0, s2
	v_lshlrev_b32_e32 v1, 1, v0
	s_addc_u32 s12, s1, s3
	s_mov_b32 s15, 0
	v_mov_b32_e32 v3, s12
	v_add_co_u32_e32 v2, vcc, s9, v1
	v_addc_co_u32_e32 v3, vcc, 0, v3, vcc
	s_lshl_b32 s9, s19, 1
	s_mov_b64 s[12:13], 0
	v_mov_b32_e32 v1, 0
	v_mov_b32_e32 v4, s15
	;; [unrolled: 1-line block ×3, first 2 shown]
.LBB27_3:                               ; =>This Inner Loop Header: Depth=1
	global_load_ushort v6, v[2:3], off
	v_add_co_u32_e32 v2, vcc, s9, v2
	v_add_u32_e32 v5, s19, v5
	v_addc_co_u32_e32 v3, vcc, v3, v4, vcc
	v_cmp_le_i32_e32 vcc, s8, v5
	s_or_b64 s[12:13], vcc, s[12:13]
	s_waitcnt vmcnt(0)
	v_lshlrev_b32_e32 v6, 16, v6
	v_fmac_f32_e32 v1, v6, v6
	s_andn2_b64 exec, exec, s[12:13]
	s_cbranch_execnz .LBB27_3
; %bb.4:
	s_or_b64 exec, exec, s[12:13]
.LBB27_5:
	s_or_b64 exec, exec, s[10:11]
	s_sub_i32 s15, s14, s8
	s_ashr_i32 s10, s15, 31
	s_lshr_b32 s10, s10, 30
	s_add_i32 s10, s15, s10
	s_ashr_i32 s16, s10, 2
	s_ashr_i32 s9, s8, 31
	v_cmp_gt_i32_e32 vcc, s16, v0
	s_and_saveexec_b64 s[10:11], vcc
	s_cbranch_execz .LBB27_9
; %bb.6:
	s_lshl_b64 s[12:13], s[8:9], 1
	s_add_u32 s17, s0, s2
	s_addc_u32 s21, s1, s3
	s_add_u32 s12, s17, s12
	v_lshlrev_b32_e32 v2, 3, v0
	s_addc_u32 s13, s21, s13
	v_mov_b32_e32 v3, s13
	v_add_co_u32_e32 v2, vcc, s12, v2
	v_addc_co_u32_e32 v3, vcc, 0, v3, vcc
	s_mov_b32 s20, 0
	v_add_co_u32_e32 v2, vcc, 4, v2
	v_addc_co_u32_e32 v3, vcc, 0, v3, vcc
	s_lshl_b32 s17, s19, 3
	s_mov_b64 s[12:13], 0
	v_mov_b32_e32 v4, s20
	v_mov_b32_e32 v5, v0
.LBB27_7:                               ; =>This Inner Loop Header: Depth=1
	global_load_dwordx2 v[6:7], v[2:3], off offset:-4
	v_add_co_u32_e32 v2, vcc, s17, v2
	v_add_u32_e32 v5, s19, v5
	v_addc_co_u32_e32 v3, vcc, v3, v4, vcc
	v_cmp_le_i32_e32 vcc, s16, v5
	s_or_b64 s[12:13], vcc, s[12:13]
	s_waitcnt vmcnt(0)
	v_and_b32_e32 v9, 0xffff0000, v6
	v_lshlrev_b32_e32 v8, 16, v6
	v_and_b32_e32 v11, 0xffff0000, v7
	v_lshlrev_b32_e32 v10, 16, v7
	v_pk_mul_f32 v[6:7], v[8:9], v[8:9]
	v_add_f32_e32 v1, v1, v6
	v_pk_mul_f32 v[8:9], v[10:11], v[10:11]
	v_add_f32_e32 v1, v1, v7
	v_add_f32_e32 v1, v1, v8
	;; [unrolled: 1-line block ×3, first 2 shown]
	s_andn2_b64 exec, exec, s[12:13]
	s_cbranch_execnz .LBB27_7
; %bb.8:
	s_or_b64 exec, exec, s[12:13]
.LBB27_9:
	s_or_b64 exec, exec, s[10:11]
	v_lshl_add_u32 v2, s16, 2, v0
	v_cmp_gt_i32_e32 vcc, s15, v2
	s_and_saveexec_b64 s[10:11], vcc
	s_cbranch_execz .LBB27_13
; %bb.10:
	s_lshl_b64 s[8:9], s[8:9], 1
	s_add_u32 s12, s0, s2
	s_addc_u32 s13, s1, s3
	v_ashrrev_i32_e32 v3, 31, v2
	s_add_u32 s8, s12, s8
	v_lshlrev_b64 v[4:5], 1, v[2:3]
	s_addc_u32 s9, s13, s9
	v_mov_b32_e32 v3, s9
	v_add_co_u32_e32 v4, vcc, s8, v4
	s_mov_b32 s13, 0
	v_addc_co_u32_e32 v5, vcc, v3, v5, vcc
	s_lshl_b32 s12, s19, 1
	s_mov_b64 s[8:9], 0
	v_mov_b32_e32 v3, s13
.LBB27_11:                              ; =>This Inner Loop Header: Depth=1
	global_load_ushort v6, v[4:5], off
	v_add_co_u32_e32 v4, vcc, s12, v4
	v_add_u32_e32 v2, s19, v2
	v_addc_co_u32_e32 v5, vcc, v5, v3, vcc
	v_cmp_le_i32_e32 vcc, s15, v2
	s_or_b64 s[8:9], vcc, s[8:9]
	s_waitcnt vmcnt(0)
	v_lshlrev_b32_e32 v6, 16, v6
	v_fmac_f32_e32 v1, v6, v6
	s_andn2_b64 exec, exec, s[8:9]
	s_cbranch_execnz .LBB27_11
; %bb.12:
	s_or_b64 exec, exec, s[8:9]
.LBB27_13:
	s_or_b64 exec, exec, s[10:11]
	s_branch .LBB27_20
.LBB27_14:
                                        ; implicit-def: $vgpr1
	s_cbranch_execz .LBB27_20
; %bb.15:
	s_ashr_i32 s10, s14, 2
	v_cmp_gt_i32_e32 vcc, s10, v0
	v_mov_b32_e32 v1, 0
	s_and_saveexec_b64 s[8:9], vcc
	s_cbranch_execz .LBB27_19
; %bb.16:
	s_add_u32 s0, s0, s2
	v_lshlrev_b32_e32 v1, 3, v0
	s_addc_u32 s1, s1, s3
	s_mov_b32 s11, 0
	v_mov_b32_e32 v3, s1
	v_add_co_u32_e32 v2, vcc, s0, v1
	v_addc_co_u32_e32 v3, vcc, 0, v3, vcc
	s_lshl_b32 s2, s19, 3
	s_mov_b64 s[0:1], 0
	v_mov_b32_e32 v1, 0
	v_mov_b32_e32 v4, s11
	;; [unrolled: 1-line block ×3, first 2 shown]
.LBB27_17:                              ; =>This Inner Loop Header: Depth=1
	global_load_dwordx2 v[6:7], v[2:3], off
	v_add_co_u32_e32 v2, vcc, s2, v2
	v_add_u32_e32 v5, s19, v5
	v_addc_co_u32_e32 v3, vcc, v3, v4, vcc
	v_cmp_le_i32_e32 vcc, s10, v5
	s_or_b64 s[0:1], vcc, s[0:1]
	s_waitcnt vmcnt(0)
	v_lshlrev_b32_e32 v9, 16, v6
	v_and_b32_e32 v8, 0xffff0000, v6
	v_alignbit_b32 v6, v7, v6, 16
	v_fmac_f32_e32 v1, v9, v9
	v_and_b32_e32 v6, 0xffff0000, v6
	v_fmac_f32_e32 v1, v8, v8
	v_and_b32_e32 v7, 0xffff0000, v7
	v_fmac_f32_e32 v1, v6, v6
	v_fmac_f32_e32 v1, v7, v7
	s_andn2_b64 exec, exec, s[0:1]
	s_cbranch_execnz .LBB27_17
; %bb.18:
	s_or_b64 exec, exec, s[0:1]
.LBB27_19:
	s_or_b64 exec, exec, s[8:9]
.LBB27_20:
	v_mbcnt_lo_u32_b32 v2, -1, 0
	v_mbcnt_hi_u32_b32 v2, -1, v2
	v_and_b32_e32 v3, 63, v2
	v_cmp_ne_u32_e32 vcc, 63, v3
	v_addc_co_u32_e32 v4, vcc, 0, v2, vcc
	v_lshlrev_b32_e32 v4, 2, v4
	ds_bpermute_b32 v4, v4, v1
	v_and_b32_e32 v5, 0x3c0, v0
	v_sub_u32_e64 v5, s19, v5 clamp
	v_add_u32_e32 v6, 1, v2
	v_cmp_lt_u32_e32 vcc, v6, v5
	s_waitcnt lgkmcnt(0)
	v_add_f32_e32 v4, v1, v4
	v_cndmask_b32_e32 v1, v1, v4, vcc
	v_cmp_gt_u32_e32 vcc, 62, v3
	v_cndmask_b32_e64 v4, 0, 1, vcc
	v_lshlrev_b32_e32 v4, 1, v4
	v_add_lshl_u32 v4, v4, v2, 2
	ds_bpermute_b32 v4, v4, v1
	v_add_u32_e32 v6, 2, v2
	v_cmp_lt_u32_e32 vcc, v6, v5
	v_add_u32_e32 v6, 4, v2
	s_waitcnt lgkmcnt(0)
	v_add_f32_e32 v4, v1, v4
	v_cndmask_b32_e32 v1, v1, v4, vcc
	v_cmp_gt_u32_e32 vcc, 60, v3
	v_cndmask_b32_e64 v4, 0, 1, vcc
	v_lshlrev_b32_e32 v4, 2, v4
	v_add_lshl_u32 v4, v4, v2, 2
	ds_bpermute_b32 v4, v4, v1
	v_cmp_lt_u32_e32 vcc, v6, v5
	v_add_u32_e32 v6, 8, v2
	s_waitcnt lgkmcnt(0)
	v_add_f32_e32 v4, v1, v4
	v_cndmask_b32_e32 v1, v1, v4, vcc
	v_cmp_gt_u32_e32 vcc, 56, v3
	v_cndmask_b32_e64 v4, 0, 1, vcc
	v_lshlrev_b32_e32 v4, 3, v4
	v_add_lshl_u32 v4, v4, v2, 2
	ds_bpermute_b32 v4, v4, v1
	;; [unrolled: 10-line block ×3, first 2 shown]
	v_cmp_lt_u32_e32 vcc, v6, v5
	s_waitcnt lgkmcnt(0)
	v_add_f32_e32 v4, v1, v4
	v_cndmask_b32_e32 v1, v1, v4, vcc
	v_cmp_gt_u32_e32 vcc, 32, v3
	v_cndmask_b32_e64 v3, 0, 1, vcc
	v_lshlrev_b32_e32 v3, 5, v3
	v_add_lshl_u32 v3, v3, v2, 2
	ds_bpermute_b32 v3, v3, v1
	v_add_u32_e32 v4, 32, v2
	v_cmp_lt_u32_e32 vcc, v4, v5
	s_waitcnt lgkmcnt(0)
	v_add_f32_e32 v3, v1, v3
	v_cndmask_b32_e32 v1, v1, v3, vcc
	v_cmp_eq_u32_e32 vcc, 0, v2
	s_and_saveexec_b64 s[0:1], vcc
	s_cbranch_execz .LBB27_22
; %bb.21:
	v_lshrrev_b32_e32 v3, 4, v0
	v_and_b32_e32 v3, 60, v3
	ds_write_b32 v3, v1
.LBB27_22:
	s_or_b64 exec, exec, s[0:1]
	v_cmp_gt_u32_e32 vcc, 16, v0
	s_waitcnt lgkmcnt(0)
	s_barrier
	s_and_saveexec_b64 s[2:3], vcc
	s_cbranch_execz .LBB27_24
; %bb.23:
	v_lshlrev_b32_e32 v1, 2, v2
	ds_read_b32 v1, v1
	v_and_b32_e32 v3, 15, v2
	v_cmp_ne_u32_e32 vcc, 15, v3
	v_addc_co_u32_e32 v4, vcc, 0, v2, vcc
	v_lshlrev_b32_e32 v4, 2, v4
	s_waitcnt lgkmcnt(0)
	ds_bpermute_b32 v4, v4, v1
	s_add_i32 s0, s19, 63
	s_lshr_b32 s8, s0, 6
	v_add_u32_e32 v5, 1, v3
	v_cmp_gt_u32_e64 s[0:1], 14, v3
	v_cmp_gt_u32_e32 vcc, s8, v5
	v_cndmask_b32_e64 v5, 0, 1, s[0:1]
	s_waitcnt lgkmcnt(0)
	v_add_f32_e32 v4, v1, v4
	v_lshlrev_b32_e32 v5, 1, v5
	v_cndmask_b32_e32 v4, v1, v4, vcc
	v_add_lshl_u32 v5, v5, v2, 2
	ds_bpermute_b32 v5, v5, v4
	v_add_u32_e32 v6, 2, v3
	v_cmp_gt_u32_e64 s[0:1], s8, v6
	v_add_u32_e32 v6, 4, v3
	s_waitcnt lgkmcnt(0)
	v_add_f32_e32 v5, v4, v5
	v_cndmask_b32_e64 v4, v4, v5, s[0:1]
	v_cmp_gt_u32_e64 s[0:1], 12, v3
	v_cndmask_b32_e64 v5, 0, 1, s[0:1]
	v_lshlrev_b32_e32 v5, 2, v5
	v_add_lshl_u32 v5, v5, v2, 2
	ds_bpermute_b32 v5, v5, v4
	v_cmp_gt_u32_e64 s[0:1], s8, v6
	s_waitcnt lgkmcnt(0)
	v_add_f32_e32 v5, v4, v5
	v_cndmask_b32_e64 v4, v4, v5, s[0:1]
	v_cmp_gt_u32_e64 s[0:1], 8, v3
	v_cndmask_b32_e64 v5, 0, 1, s[0:1]
	v_lshlrev_b32_e32 v5, 3, v5
	v_add_lshl_u32 v2, v5, v2, 2
	ds_bpermute_b32 v2, v2, v4
	v_add_u32_e32 v3, 8, v3
	v_cmp_gt_u32_e64 s[0:1], s8, v3
	s_waitcnt lgkmcnt(0)
	v_add_f32_e32 v2, v4, v2
	v_cndmask_b32_e64 v2, v4, v2, s[0:1]
	v_cndmask_b32_e32 v1, v1, v2, vcc
.LBB27_24:
	s_or_b64 exec, exec, s[2:3]
	v_cmp_eq_u32_e32 vcc, 0, v0
	s_and_saveexec_b64 s[0:1], vcc
	s_cbranch_execz .LBB27_26
; %bb.25:
	v_cvt_f32_i32_e32 v2, s14
	s_load_dword s8, s[4:5], 0x28
	v_div_scale_f32 v3, s[2:3], v2, v2, v1
	v_rcp_f32_e32 v4, v3
	v_div_scale_f32 v5, vcc, v1, v2, v1
	s_mov_b32 s2, 0x800000
	v_fma_f32 v6, -v3, v4, 1.0
	v_fmac_f32_e32 v4, v6, v4
	v_mul_f32_e32 v6, v5, v4
	v_fma_f32 v7, -v3, v6, v5
	v_fmac_f32_e32 v6, v7, v4
	v_fma_f32 v3, -v3, v6, v5
	v_div_fmas_f32 v3, v3, v4, v6
	v_div_fixup_f32 v1, v3, v2, v1
	s_waitcnt lgkmcnt(0)
	v_add_f32_e32 v1, s8, v1
	v_mul_f32_e32 v2, 0x4b800000, v1
	v_cmp_gt_f32_e32 vcc, s2, v1
	v_cndmask_b32_e32 v1, v1, v2, vcc
	v_rsq_f32_e32 v1, v1
	v_mul_f32_e32 v2, 0x45800000, v1
	v_cndmask_b32_e32 v1, v1, v2, vcc
	v_mov_b32_e32 v2, 0
	ds_write_b32 v2, v1 offset:64
.LBB27_26:
	s_or_b64 exec, exec, s[0:1]
	s_ashr_i32 s0, s14, 31
	s_lshr_b32 s0, s0, 30
	s_add_i32 s0, s14, s0
	s_ashr_i32 s20, s0, 2
	v_cmp_gt_i32_e32 vcc, s20, v0
	s_waitcnt lgkmcnt(0)
	s_barrier
	s_and_saveexec_b64 s[0:1], vcc
	s_cbranch_execz .LBB27_69
; %bb.27:
	s_load_dwordx4 s[8:11], s[4:5], 0x18
	s_load_dwordx2 s[2:3], s[4:5], 0x0
	v_mov_b32_e32 v3, 0
	ds_read_b32 v1, v3 offset:64
	s_mul_i32 s6, s6, s14
	s_waitcnt lgkmcnt(0)
	s_load_dword s4, s[10:11], 0x0
	v_lshlrev_b32_e32 v2, 3, v0
	s_lshl_b32 s21, s19, 2
	v_lshl_add_u32 v12, v0, 2, s6
	s_mov_b32 s22, 0
	s_waitcnt lgkmcnt(0)
	v_div_scale_f32 v4, s[0:1], s4, s4, 1.0
	v_rcp_f32_e32 v5, v4
	v_div_scale_f32 v6, vcc, 1.0, s4, 1.0
	s_lshl_b32 s23, s19, 3
	v_fma_f32 v7, -v4, v5, 1.0
	v_fmac_f32_e32 v5, v7, v5
	v_mul_f32_e32 v7, v6, v5
	v_fma_f32 v8, -v4, v7, v6
	v_fmac_f32_e32 v7, v8, v5
	v_fma_f32 v4, -v4, v7, v6
	v_div_fmas_f32 v4, v4, v5, v7
	v_div_fixup_f32 v13, v4, s4, 1.0
	s_mov_b64 s[4:5], 0
	v_mov_b32_e32 v14, s7
	v_mov_b32_e32 v15, s9
	s_movk_i32 s9, 0x7fff
	v_mov_b32_e32 v16, 0x7fc00000
	s_movk_i32 s24, 0x7f
	s_mov_b64 s[6:7], 0x7f800000
	s_mov_b64 s[10:11], 0x43700001
	s_movk_i32 s25, 0x78
	s_movk_i32 s26, 0x80
	v_mov_b32_e32 v17, 0x77
	v_mov_b32_e32 v18, 0xffffff8a
	v_pk_mov_b32 v[4:5], v[2:3], v[2:3] op_sel:[0,1]
	s_branch .LBB27_32
.LBB27_28:                              ;   in Loop: Header=BB27_32 Depth=1
	s_or_b64 exec, exec, s[0:1]
	v_lshrrev_b64 v[6:7], 20, v[6:7]
	v_cmp_gt_i32_e32 vcc, 16, v2
	v_and_b32_sdwa v8, v8, s26 dst_sel:DWORD dst_unused:UNUSED_PAD src0_sel:BYTE_3 src1_sel:DWORD
	v_min_i32_e32 v9, 15, v2
	v_cndmask_b32_e32 v7, 0, v7, vcc
	v_cndmask_b32_e32 v6, 7, v6, vcc
	v_cmp_eq_u32_e32 vcc, 0, v2
	v_cmp_eq_u64_e64 s[0:1], 0, v[6:7]
	v_lshl_or_b32 v2, v9, 3, v8
	v_and_or_b32 v2, v6, 7, v2
	s_and_b64 s[0:1], vcc, s[0:1]
	v_cndmask_b32_e64 v6, v2, 0, s[0:1]
.LBB27_29:                              ;   in Loop: Header=BB27_32 Depth=1
	s_or_b64 exec, exec, s[16:17]
.LBB27_30:                              ;   in Loop: Header=BB27_32 Depth=1
	s_andn2_saveexec_b64 s[0:1], s[14:15]
	s_or_b64 exec, exec, s[0:1]
.LBB27_31:                              ;   in Loop: Header=BB27_32 Depth=1
	s_andn2_saveexec_b64 s[0:1], s[12:13]
	s_or_b64 exec, exec, s[0:1]
	v_add_u32_e32 v0, s19, v0
	v_add_u32_e32 v2, 3, v12
	v_cmp_le_i32_e32 vcc, s20, v0
	global_store_byte v2, v6, s[2:3]
	v_mov_b32_e32 v2, s22
	s_or_b64 s[4:5], vcc, s[4:5]
	v_add_co_u32_e32 v4, vcc, s23, v4
	v_add_u32_e32 v12, s21, v12
	v_addc_co_u32_e32 v5, vcc, v5, v2, vcc
	s_andn2_b64 exec, exec, s[4:5]
	s_cbranch_execz .LBB27_69
.LBB27_32:                              ; =>This Inner Loop Header: Depth=1
	v_add_co_u32_e32 v6, vcc, s18, v4
	v_addc_co_u32_e32 v7, vcc, v14, v5, vcc
	global_load_dwordx2 v[8:9], v[6:7], off
	v_add_co_u32_e32 v6, vcc, s8, v4
	v_addc_co_u32_e32 v7, vcc, v15, v5, vcc
	global_load_dwordx2 v[6:7], v[6:7], off
	s_waitcnt vmcnt(1)
	v_lshlrev_b32_e32 v2, 16, v8
	v_mul_f32_e32 v2, v1, v2
	v_bfe_u32 v11, v2, 16, 1
	v_add3_u32 v11, v2, v11, s9
	v_and_b32_e32 v11, 0xffff0000, v11
	v_cmp_o_f32_e32 vcc, v2, v2
	s_waitcnt vmcnt(0)
	v_lshlrev_b32_e32 v10, 16, v6
	v_cndmask_b32_e32 v2, v16, v11, vcc
	v_mul_f32_e32 v2, v2, v10
	v_bfe_u32 v10, v2, 16, 1
	v_add3_u32 v10, v2, v10, s9
	v_and_b32_e32 v10, 0xffff0000, v10
	v_cmp_o_f32_e32 vcc, v2, v2
	v_cndmask_b32_e32 v2, v16, v10, vcc
	v_mul_f32_e32 v2, v13, v2
	v_min_f32_e32 v2, 0x43600000, v2
	v_max_f32_e32 v19, 0xc3600000, v2
	v_and_b32_e32 v2, 0x7f800000, v19
	v_or_b32_sdwa v10, v19, s24 dst_sel:DWORD dst_unused:UNUSED_PAD src0_sel:BYTE_3 src1_sel:DWORD
	v_cmp_ne_u64_e32 vcc, s[6:7], v[2:3]
	s_and_saveexec_b64 s[0:1], vcc
	s_xor_b64 s[12:13], exec, s[0:1]
	s_cbranch_execz .LBB27_42
; %bb.33:                               ;   in Loop: Header=BB27_32 Depth=1
	v_and_b32_e32 v2, 0x7fffffff, v19
	v_cmp_gt_u64_e32 vcc, s[10:11], v[2:3]
	s_and_saveexec_b64 s[0:1], vcc
	s_xor_b64 s[14:15], exec, s[0:1]
	s_cbranch_execz .LBB27_41
; %bb.34:                               ;   in Loop: Header=BB27_32 Depth=1
	v_cmp_ne_u32_e32 vcc, 0, v19
	v_mov_b32_e32 v10, 0
	s_and_saveexec_b64 s[16:17], vcc
	s_cbranch_execz .LBB27_40
; %bb.35:                               ;   in Loop: Header=BB27_32 Depth=1
	v_bfe_u32 v10, v19, 23, 8
	v_sub_u32_e64 v11, s25, v10 clamp
	v_cmp_eq_u32_e32 vcc, 0, v10
	v_cndmask_b32_e32 v23, v11, v17, vcc
	v_and_b32_e32 v2, 0x7fffff, v19
	v_add_u32_e32 v22, 0xffffff89, v10
	v_add_u32_e32 v10, 20, v23
	v_or_b32_e32 v20, 0x800000, v2
	v_lshlrev_b64 v[10:11], v10, -1
	v_cndmask_b32_e32 v2, v20, v2, vcc
	v_not_b32_e32 v10, v10
	v_add_u32_e32 v20, 19, v23
	v_and_b32_e32 v10, v2, v10
	v_mov_b32_e32 v11, v3
	v_lshlrev_b64 v[20:21], v20, 1
	v_cmp_eq_u64_e64 s[0:1], v[10:11], v[20:21]
	s_waitcnt vmcnt(0) expcnt(0) lgkmcnt(0)
	v_swap_b32 v0, v23
	v_lshrrev_b64 v[10:11], v0, v[2:3]
	v_swap_b32 v23, v0
	v_cndmask_b32_e32 v2, v22, v18, vcc
	v_lshrrev_b32_e32 v20, 23, v10
	v_add3_u32 v20, v2, v23, v20
	v_and_b32_e32 v2, 0x100000, v10
	v_cmp_eq_u64_e32 vcc, 0, v[2:3]
	s_and_b64 vcc, vcc, s[0:1]
	v_subbrev_co_u32_e32 v2, vcc, 0, v10, vcc
	v_and_b32_e32 v2, 0xfffff, v2
	v_add_co_u32_e32 v10, vcc, v2, v10
	v_add_u32_e32 v21, -1, v20
	v_addc_co_u32_e32 v11, vcc, 0, v11, vcc
	v_cmp_ne_u32_e32 vcc, 0, v21
                                        ; implicit-def: $vgpr2
	s_and_saveexec_b64 s[0:1], vcc
	s_xor_b64 s[0:1], exec, s[0:1]
; %bb.36:                               ;   in Loop: Header=BB27_32 Depth=1
	v_and_b32_e32 v2, 0x1000000, v10
	v_cmp_eq_u64_e32 vcc, 0, v[2:3]
	v_cndmask_b32_e32 v2, v20, v21, vcc
	v_bfe_u32 v20, v10, 24, 1
	v_lshrrev_b64 v[10:11], v20, v[10:11]
; %bb.37:                               ;   in Loop: Header=BB27_32 Depth=1
	s_andn2_saveexec_b64 s[0:1], s[0:1]
; %bb.38:                               ;   in Loop: Header=BB27_32 Depth=1
	v_bfe_u32 v2, v10, 23, 1
; %bb.39:                               ;   in Loop: Header=BB27_32 Depth=1
	s_or_b64 exec, exec, s[0:1]
	v_lshrrev_b64 v[10:11], 20, v[10:11]
	v_cmp_gt_i32_e32 vcc, 16, v2
	v_and_b32_sdwa v19, v19, s26 dst_sel:DWORD dst_unused:UNUSED_PAD src0_sel:BYTE_3 src1_sel:DWORD
	v_min_i32_e32 v20, 15, v2
	v_cndmask_b32_e32 v11, 0, v11, vcc
	v_cndmask_b32_e32 v10, 7, v10, vcc
	v_cmp_eq_u32_e32 vcc, 0, v2
	v_cmp_eq_u64_e64 s[0:1], 0, v[10:11]
	v_lshl_or_b32 v2, v20, 3, v19
	v_and_or_b32 v2, v10, 7, v2
	s_and_b64 s[0:1], vcc, s[0:1]
	v_cndmask_b32_e64 v10, v2, 0, s[0:1]
.LBB27_40:                              ;   in Loop: Header=BB27_32 Depth=1
	s_or_b64 exec, exec, s[16:17]
.LBB27_41:                              ;   in Loop: Header=BB27_32 Depth=1
	s_andn2_saveexec_b64 s[0:1], s[14:15]
	s_or_b64 exec, exec, s[0:1]
.LBB27_42:                              ;   in Loop: Header=BB27_32 Depth=1
	s_andn2_saveexec_b64 s[0:1], s[12:13]
	s_or_b64 exec, exec, s[0:1]
	v_and_b32_e32 v2, 0xffff0000, v8
	v_mul_f32_e32 v2, v1, v2
	global_store_byte v12, v10, s[2:3]
	v_bfe_u32 v10, v2, 16, 1
	v_add3_u32 v10, v2, v10, s9
	v_and_b32_e32 v10, 0xffff0000, v10
	v_cmp_o_f32_e32 vcc, v2, v2
	v_and_b32_e32 v11, 0xffff0000, v6
	v_cndmask_b32_e32 v2, v16, v10, vcc
	v_mul_f32_e32 v2, v2, v11
	v_bfe_u32 v10, v2, 16, 1
	v_add3_u32 v10, v2, v10, s9
	v_and_b32_e32 v10, 0xffff0000, v10
	v_cmp_o_f32_e32 vcc, v2, v2
	v_cndmask_b32_e32 v2, v16, v10, vcc
	v_mul_f32_e32 v2, v13, v2
	v_min_f32_e32 v2, 0x43600000, v2
	v_max_f32_e32 v19, 0xc3600000, v2
	v_and_b32_e32 v2, 0x7f800000, v19
	v_or_b32_sdwa v10, v19, s24 dst_sel:DWORD dst_unused:UNUSED_PAD src0_sel:BYTE_3 src1_sel:DWORD
	v_cmp_ne_u64_e32 vcc, s[6:7], v[2:3]
	s_and_saveexec_b64 s[0:1], vcc
	s_xor_b64 s[12:13], exec, s[0:1]
	s_cbranch_execz .LBB27_52
; %bb.43:                               ;   in Loop: Header=BB27_32 Depth=1
	v_and_b32_e32 v2, 0x7fffffff, v19
	v_cmp_gt_u64_e32 vcc, s[10:11], v[2:3]
	s_and_saveexec_b64 s[0:1], vcc
	s_xor_b64 s[14:15], exec, s[0:1]
	s_cbranch_execz .LBB27_51
; %bb.44:                               ;   in Loop: Header=BB27_32 Depth=1
	v_cmp_ne_u32_e32 vcc, 0, v19
	v_mov_b32_e32 v10, 0
	s_and_saveexec_b64 s[16:17], vcc
	s_cbranch_execz .LBB27_50
; %bb.45:                               ;   in Loop: Header=BB27_32 Depth=1
	v_bfe_u32 v10, v19, 23, 8
	v_sub_u32_e64 v11, s25, v10 clamp
	v_cmp_eq_u32_e32 vcc, 0, v10
	v_cndmask_b32_e32 v23, v11, v17, vcc
	v_and_b32_e32 v2, 0x7fffff, v19
	v_add_u32_e32 v22, 0xffffff89, v10
	v_add_u32_e32 v10, 20, v23
	v_or_b32_e32 v20, 0x800000, v2
	v_lshlrev_b64 v[10:11], v10, -1
	v_cndmask_b32_e32 v2, v20, v2, vcc
	v_not_b32_e32 v10, v10
	v_add_u32_e32 v20, 19, v23
	v_and_b32_e32 v10, v2, v10
	v_mov_b32_e32 v11, v3
	v_lshlrev_b64 v[20:21], v20, 1
	v_cmp_eq_u64_e64 s[0:1], v[10:11], v[20:21]
	s_waitcnt vmcnt(0) expcnt(0) lgkmcnt(0)
	v_swap_b32 v0, v23
	v_lshrrev_b64 v[10:11], v0, v[2:3]
	v_swap_b32 v23, v0
	v_cndmask_b32_e32 v2, v22, v18, vcc
	v_lshrrev_b32_e32 v20, 23, v10
	v_add3_u32 v20, v2, v23, v20
	v_and_b32_e32 v2, 0x100000, v10
	v_cmp_eq_u64_e32 vcc, 0, v[2:3]
	s_and_b64 vcc, vcc, s[0:1]
	v_subbrev_co_u32_e32 v2, vcc, 0, v10, vcc
	v_and_b32_e32 v2, 0xfffff, v2
	v_add_co_u32_e32 v10, vcc, v2, v10
	v_add_u32_e32 v21, -1, v20
	v_addc_co_u32_e32 v11, vcc, 0, v11, vcc
	v_cmp_ne_u32_e32 vcc, 0, v21
                                        ; implicit-def: $vgpr2
	s_and_saveexec_b64 s[0:1], vcc
	s_xor_b64 s[0:1], exec, s[0:1]
; %bb.46:                               ;   in Loop: Header=BB27_32 Depth=1
	v_and_b32_e32 v2, 0x1000000, v10
	v_cmp_eq_u64_e32 vcc, 0, v[2:3]
	v_cndmask_b32_e32 v2, v20, v21, vcc
	v_bfe_u32 v20, v10, 24, 1
	v_lshrrev_b64 v[10:11], v20, v[10:11]
; %bb.47:                               ;   in Loop: Header=BB27_32 Depth=1
	s_andn2_saveexec_b64 s[0:1], s[0:1]
; %bb.48:                               ;   in Loop: Header=BB27_32 Depth=1
	v_bfe_u32 v2, v10, 23, 1
; %bb.49:                               ;   in Loop: Header=BB27_32 Depth=1
	s_or_b64 exec, exec, s[0:1]
	v_lshrrev_b64 v[10:11], 20, v[10:11]
	v_cmp_gt_i32_e32 vcc, 16, v2
	v_and_b32_sdwa v19, v19, s26 dst_sel:DWORD dst_unused:UNUSED_PAD src0_sel:BYTE_3 src1_sel:DWORD
	v_min_i32_e32 v20, 15, v2
	v_cndmask_b32_e32 v11, 0, v11, vcc
	v_cndmask_b32_e32 v10, 7, v10, vcc
	v_cmp_eq_u32_e32 vcc, 0, v2
	v_cmp_eq_u64_e64 s[0:1], 0, v[10:11]
	v_lshl_or_b32 v2, v20, 3, v19
	v_and_or_b32 v2, v10, 7, v2
	s_and_b64 s[0:1], vcc, s[0:1]
	v_cndmask_b32_e64 v10, v2, 0, s[0:1]
.LBB27_50:                              ;   in Loop: Header=BB27_32 Depth=1
	s_or_b64 exec, exec, s[16:17]
.LBB27_51:                              ;   in Loop: Header=BB27_32 Depth=1
	s_andn2_saveexec_b64 s[0:1], s[14:15]
	s_or_b64 exec, exec, s[0:1]
.LBB27_52:                              ;   in Loop: Header=BB27_32 Depth=1
	s_andn2_saveexec_b64 s[0:1], s[12:13]
	s_or_b64 exec, exec, s[0:1]
	v_add_u32_e32 v2, 1, v12
	global_store_byte v2, v10, s[2:3]
	v_alignbit_b32 v2, v9, v8, 16
	v_and_b32_e32 v2, 0xffff0000, v2
	v_mul_f32_e32 v2, v1, v2
	v_bfe_u32 v8, v2, 16, 1
	v_add3_u32 v8, v2, v8, s9
	v_and_b32_e32 v8, 0xffff0000, v8
	v_cmp_o_f32_e32 vcc, v2, v2
	v_alignbit_b32 v6, v7, v6, 16
	v_cndmask_b32_e32 v2, v16, v8, vcc
	v_and_b32_e32 v6, 0xffff0000, v6
	v_mul_f32_e32 v2, v2, v6
	v_bfe_u32 v6, v2, 16, 1
	v_add3_u32 v6, v2, v6, s9
	v_and_b32_e32 v6, 0xffff0000, v6
	v_cmp_o_f32_e32 vcc, v2, v2
	v_cndmask_b32_e32 v2, v16, v6, vcc
	v_mul_f32_e32 v2, v13, v2
	v_min_f32_e32 v2, 0x43600000, v2
	v_max_f32_e32 v6, 0xc3600000, v2
	v_and_b32_e32 v2, 0x7f800000, v6
	v_or_b32_sdwa v8, v6, s24 dst_sel:DWORD dst_unused:UNUSED_PAD src0_sel:BYTE_3 src1_sel:DWORD
	v_cmp_ne_u64_e32 vcc, s[6:7], v[2:3]
	s_and_saveexec_b64 s[0:1], vcc
	s_xor_b64 s[12:13], exec, s[0:1]
	s_cbranch_execz .LBB27_62
; %bb.53:                               ;   in Loop: Header=BB27_32 Depth=1
	v_and_b32_e32 v2, 0x7fffffff, v6
	v_cmp_gt_u64_e32 vcc, s[10:11], v[2:3]
	s_and_saveexec_b64 s[0:1], vcc
	s_xor_b64 s[14:15], exec, s[0:1]
	s_cbranch_execz .LBB27_61
; %bb.54:                               ;   in Loop: Header=BB27_32 Depth=1
	v_cmp_ne_u32_e32 vcc, 0, v6
	v_mov_b32_e32 v8, 0
	s_and_saveexec_b64 s[16:17], vcc
	s_cbranch_execz .LBB27_60
; %bb.55:                               ;   in Loop: Header=BB27_32 Depth=1
	v_bfe_u32 v8, v6, 23, 8
	v_sub_u32_e64 v10, s25, v8 clamp
	v_cmp_eq_u32_e32 vcc, 0, v8
	v_and_b32_e32 v2, 0x7fffff, v6
	v_add_u32_e32 v19, 0xffffff89, v8
	v_cndmask_b32_e32 v8, v10, v17, vcc
	v_or_b32_e32 v11, 0x800000, v2
	v_add_u32_e32 v10, 20, v8
	v_cndmask_b32_e32 v2, v11, v2, vcc
	v_lshlrev_b64 v[10:11], v10, -1
	v_not_b32_e32 v10, v10
	v_add_u32_e32 v20, 19, v8
	v_and_b32_e32 v10, v2, v10
	v_mov_b32_e32 v11, v3
	v_lshlrev_b64 v[20:21], v20, 1
	v_cmp_eq_u64_e64 s[0:1], v[10:11], v[20:21]
	v_lshrrev_b64 v[10:11], v8, v[2:3]
	v_cndmask_b32_e32 v2, v19, v18, vcc
	v_lshrrev_b32_e32 v19, 23, v10
	v_add3_u32 v8, v2, v8, v19
	v_and_b32_e32 v2, 0x100000, v10
	v_cmp_eq_u64_e32 vcc, 0, v[2:3]
	s_and_b64 vcc, vcc, s[0:1]
	v_subbrev_co_u32_e32 v2, vcc, 0, v10, vcc
	v_and_b32_e32 v2, 0xfffff, v2
	v_add_co_u32_e32 v10, vcc, v2, v10
	v_add_u32_e32 v19, -1, v8
	v_addc_co_u32_e32 v11, vcc, 0, v11, vcc
	v_cmp_ne_u32_e32 vcc, 0, v19
                                        ; implicit-def: $vgpr2
	s_and_saveexec_b64 s[0:1], vcc
	s_xor_b64 s[0:1], exec, s[0:1]
; %bb.56:                               ;   in Loop: Header=BB27_32 Depth=1
	v_and_b32_e32 v2, 0x1000000, v10
	v_cmp_eq_u64_e32 vcc, 0, v[2:3]
	v_cndmask_b32_e32 v2, v8, v19, vcc
	v_bfe_u32 v8, v10, 24, 1
	v_lshrrev_b64 v[10:11], v8, v[10:11]
; %bb.57:                               ;   in Loop: Header=BB27_32 Depth=1
	s_andn2_saveexec_b64 s[0:1], s[0:1]
; %bb.58:                               ;   in Loop: Header=BB27_32 Depth=1
	v_bfe_u32 v2, v10, 23, 1
; %bb.59:                               ;   in Loop: Header=BB27_32 Depth=1
	s_or_b64 exec, exec, s[0:1]
	v_lshrrev_b64 v[10:11], 20, v[10:11]
	v_cmp_gt_i32_e32 vcc, 16, v2
	v_and_b32_sdwa v6, v6, s26 dst_sel:DWORD dst_unused:UNUSED_PAD src0_sel:BYTE_3 src1_sel:DWORD
	v_min_i32_e32 v8, 15, v2
	v_cndmask_b32_e32 v11, 0, v11, vcc
	v_cndmask_b32_e32 v10, 7, v10, vcc
	v_cmp_eq_u32_e32 vcc, 0, v2
	v_cmp_eq_u64_e64 s[0:1], 0, v[10:11]
	v_lshl_or_b32 v2, v8, 3, v6
	v_and_or_b32 v2, v10, 7, v2
	s_and_b64 s[0:1], vcc, s[0:1]
	v_cndmask_b32_e64 v8, v2, 0, s[0:1]
.LBB27_60:                              ;   in Loop: Header=BB27_32 Depth=1
	s_or_b64 exec, exec, s[16:17]
.LBB27_61:                              ;   in Loop: Header=BB27_32 Depth=1
	s_andn2_saveexec_b64 s[0:1], s[14:15]
	s_or_b64 exec, exec, s[0:1]
.LBB27_62:                              ;   in Loop: Header=BB27_32 Depth=1
	s_andn2_saveexec_b64 s[0:1], s[12:13]
	s_or_b64 exec, exec, s[0:1]
	v_add_u32_e32 v2, 2, v12
	global_store_byte v2, v8, s[2:3]
	v_and_b32_e32 v2, 0xffff0000, v9
	v_mul_f32_e32 v2, v1, v2
	v_bfe_u32 v6, v2, 16, 1
	v_add3_u32 v6, v2, v6, s9
	v_and_b32_e32 v6, 0xffff0000, v6
	v_cmp_o_f32_e32 vcc, v2, v2
	v_cndmask_b32_e32 v2, v16, v6, vcc
	v_and_b32_e32 v6, 0xffff0000, v7
	v_mul_f32_e32 v2, v2, v6
	v_bfe_u32 v6, v2, 16, 1
	v_add3_u32 v6, v2, v6, s9
	v_and_b32_e32 v6, 0xffff0000, v6
	v_cmp_o_f32_e32 vcc, v2, v2
	v_cndmask_b32_e32 v2, v16, v6, vcc
	v_mul_f32_e32 v2, v13, v2
	v_min_f32_e32 v2, 0x43600000, v2
	v_max_f32_e32 v8, 0xc3600000, v2
	v_and_b32_e32 v2, 0x7f800000, v8
	v_or_b32_sdwa v6, v8, s24 dst_sel:DWORD dst_unused:UNUSED_PAD src0_sel:BYTE_3 src1_sel:DWORD
	v_cmp_ne_u64_e32 vcc, s[6:7], v[2:3]
	s_and_saveexec_b64 s[0:1], vcc
	s_xor_b64 s[12:13], exec, s[0:1]
	s_cbranch_execz .LBB27_31
; %bb.63:                               ;   in Loop: Header=BB27_32 Depth=1
	v_and_b32_e32 v2, 0x7fffffff, v8
	v_cmp_gt_u64_e32 vcc, s[10:11], v[2:3]
	s_and_saveexec_b64 s[0:1], vcc
	s_xor_b64 s[14:15], exec, s[0:1]
	s_cbranch_execz .LBB27_30
; %bb.64:                               ;   in Loop: Header=BB27_32 Depth=1
	v_cmp_ne_u32_e32 vcc, 0, v8
	v_mov_b32_e32 v6, 0
	s_and_saveexec_b64 s[16:17], vcc
	s_cbranch_execz .LBB27_29
; %bb.65:                               ;   in Loop: Header=BB27_32 Depth=1
	v_bfe_u32 v6, v8, 23, 8
	v_sub_u32_e64 v7, s25, v6 clamp
	v_cmp_eq_u32_e32 vcc, 0, v6
	v_cndmask_b32_e32 v20, v7, v17, vcc
	v_and_b32_e32 v2, 0x7fffff, v8
	v_add_u32_e32 v19, 0xffffff89, v6
	v_add_u32_e32 v6, 20, v20
	v_or_b32_e32 v9, 0x800000, v2
	v_lshlrev_b64 v[6:7], v6, -1
	v_cndmask_b32_e32 v2, v9, v2, vcc
	v_not_b32_e32 v6, v6
	v_add_u32_e32 v9, 19, v20
	v_and_b32_e32 v6, v2, v6
	v_mov_b32_e32 v7, v3
	v_lshlrev_b64 v[10:11], v9, 1
	v_cmp_eq_u64_e64 s[0:1], v[6:7], v[10:11]
	v_lshrrev_b64 v[6:7], v20, v[2:3]
	v_cndmask_b32_e32 v2, v19, v18, vcc
	v_lshrrev_b32_e32 v9, 23, v6
	v_add3_u32 v9, v2, v20, v9
	v_and_b32_e32 v2, 0x100000, v6
	v_cmp_eq_u64_e32 vcc, 0, v[2:3]
	s_and_b64 vcc, vcc, s[0:1]
	v_subbrev_co_u32_e32 v2, vcc, 0, v6, vcc
	v_and_b32_e32 v2, 0xfffff, v2
	v_add_co_u32_e32 v6, vcc, v2, v6
	v_add_u32_e32 v10, -1, v9
	v_addc_co_u32_e32 v7, vcc, 0, v7, vcc
	v_cmp_ne_u32_e32 vcc, 0, v10
                                        ; implicit-def: $vgpr2
	s_and_saveexec_b64 s[0:1], vcc
	s_xor_b64 s[0:1], exec, s[0:1]
; %bb.66:                               ;   in Loop: Header=BB27_32 Depth=1
	v_and_b32_e32 v2, 0x1000000, v6
	v_cmp_eq_u64_e32 vcc, 0, v[2:3]
	v_cndmask_b32_e32 v2, v9, v10, vcc
	v_bfe_u32 v9, v6, 24, 1
	v_lshrrev_b64 v[6:7], v9, v[6:7]
; %bb.67:                               ;   in Loop: Header=BB27_32 Depth=1
	s_andn2_saveexec_b64 s[0:1], s[0:1]
	s_cbranch_execz .LBB27_28
; %bb.68:                               ;   in Loop: Header=BB27_32 Depth=1
	v_bfe_u32 v2, v6, 23, 1
	s_branch .LBB27_28
.LBB27_69:
	s_endpgm
	.section	.rodata,"a",@progbits
	.p2align	6, 0x0
	.amdhsa_kernel _ZN4vllm32rms_norm_static_fp8_quant_kernelIN3c108BFloat16ENS1_15Float8_e4m3fnuzELi4EEEvPT0_PKT_iS8_PKffii
		.amdhsa_group_segment_fixed_size 68
		.amdhsa_private_segment_fixed_size 0
		.amdhsa_kernarg_size 312
		.amdhsa_user_sgpr_count 6
		.amdhsa_user_sgpr_private_segment_buffer 1
		.amdhsa_user_sgpr_dispatch_ptr 0
		.amdhsa_user_sgpr_queue_ptr 0
		.amdhsa_user_sgpr_kernarg_segment_ptr 1
		.amdhsa_user_sgpr_dispatch_id 0
		.amdhsa_user_sgpr_flat_scratch_init 0
		.amdhsa_user_sgpr_kernarg_preload_length 0
		.amdhsa_user_sgpr_kernarg_preload_offset 0
		.amdhsa_user_sgpr_private_segment_size 0
		.amdhsa_uses_dynamic_stack 0
		.amdhsa_system_sgpr_private_segment_wavefront_offset 0
		.amdhsa_system_sgpr_workgroup_id_x 1
		.amdhsa_system_sgpr_workgroup_id_y 0
		.amdhsa_system_sgpr_workgroup_id_z 0
		.amdhsa_system_sgpr_workgroup_info 0
		.amdhsa_system_vgpr_workitem_id 0
		.amdhsa_next_free_vgpr 24
		.amdhsa_next_free_sgpr 27
		.amdhsa_accum_offset 24
		.amdhsa_reserve_vcc 1
		.amdhsa_reserve_flat_scratch 0
		.amdhsa_float_round_mode_32 0
		.amdhsa_float_round_mode_16_64 0
		.amdhsa_float_denorm_mode_32 3
		.amdhsa_float_denorm_mode_16_64 3
		.amdhsa_dx10_clamp 1
		.amdhsa_ieee_mode 1
		.amdhsa_fp16_overflow 0
		.amdhsa_tg_split 0
		.amdhsa_exception_fp_ieee_invalid_op 0
		.amdhsa_exception_fp_denorm_src 0
		.amdhsa_exception_fp_ieee_div_zero 0
		.amdhsa_exception_fp_ieee_overflow 0
		.amdhsa_exception_fp_ieee_underflow 0
		.amdhsa_exception_fp_ieee_inexact 0
		.amdhsa_exception_int_div_zero 0
	.end_amdhsa_kernel
	.section	.text._ZN4vllm32rms_norm_static_fp8_quant_kernelIN3c108BFloat16ENS1_15Float8_e4m3fnuzELi4EEEvPT0_PKT_iS8_PKffii,"axG",@progbits,_ZN4vllm32rms_norm_static_fp8_quant_kernelIN3c108BFloat16ENS1_15Float8_e4m3fnuzELi4EEEvPT0_PKT_iS8_PKffii,comdat
.Lfunc_end27:
	.size	_ZN4vllm32rms_norm_static_fp8_quant_kernelIN3c108BFloat16ENS1_15Float8_e4m3fnuzELi4EEEvPT0_PKT_iS8_PKffii, .Lfunc_end27-_ZN4vllm32rms_norm_static_fp8_quant_kernelIN3c108BFloat16ENS1_15Float8_e4m3fnuzELi4EEEvPT0_PKT_iS8_PKffii
                                        ; -- End function
	.section	.AMDGPU.csdata,"",@progbits
; Kernel info:
; codeLenInByte = 3960
; NumSgprs: 31
; NumVgprs: 24
; NumAgprs: 0
; TotalNumVgprs: 24
; ScratchSize: 0
; MemoryBound: 0
; FloatMode: 240
; IeeeMode: 1
; LDSByteSize: 68 bytes/workgroup (compile time only)
; SGPRBlocks: 3
; VGPRBlocks: 2
; NumSGPRsForWavesPerEU: 31
; NumVGPRsForWavesPerEU: 24
; AccumOffset: 24
; Occupancy: 8
; WaveLimiterHint : 0
; COMPUTE_PGM_RSRC2:SCRATCH_EN: 0
; COMPUTE_PGM_RSRC2:USER_SGPR: 6
; COMPUTE_PGM_RSRC2:TRAP_HANDLER: 0
; COMPUTE_PGM_RSRC2:TGID_X_EN: 1
; COMPUTE_PGM_RSRC2:TGID_Y_EN: 0
; COMPUTE_PGM_RSRC2:TGID_Z_EN: 0
; COMPUTE_PGM_RSRC2:TIDIG_COMP_CNT: 0
; COMPUTE_PGM_RSRC3_GFX90A:ACCUM_OFFSET: 5
; COMPUTE_PGM_RSRC3_GFX90A:TG_SPLIT: 0
	.section	.text._ZN4vllm32rms_norm_static_fp8_quant_kernelIN3c108BFloat16ENS1_15Float8_e4m3fnuzELi2EEEvPT0_PKT_iS8_PKffii,"axG",@progbits,_ZN4vllm32rms_norm_static_fp8_quant_kernelIN3c108BFloat16ENS1_15Float8_e4m3fnuzELi2EEEvPT0_PKT_iS8_PKffii,comdat
	.protected	_ZN4vllm32rms_norm_static_fp8_quant_kernelIN3c108BFloat16ENS1_15Float8_e4m3fnuzELi2EEEvPT0_PKT_iS8_PKffii ; -- Begin function _ZN4vllm32rms_norm_static_fp8_quant_kernelIN3c108BFloat16ENS1_15Float8_e4m3fnuzELi2EEEvPT0_PKT_iS8_PKffii
	.globl	_ZN4vllm32rms_norm_static_fp8_quant_kernelIN3c108BFloat16ENS1_15Float8_e4m3fnuzELi2EEEvPT0_PKT_iS8_PKffii
	.p2align	8
	.type	_ZN4vllm32rms_norm_static_fp8_quant_kernelIN3c108BFloat16ENS1_15Float8_e4m3fnuzELi2EEEvPT0_PKT_iS8_PKffii,@function
_ZN4vllm32rms_norm_static_fp8_quant_kernelIN3c108BFloat16ENS1_15Float8_e4m3fnuzELi2EEEvPT0_PKT_iS8_PKffii: ; @_ZN4vllm32rms_norm_static_fp8_quant_kernelIN3c108BFloat16ENS1_15Float8_e4m3fnuzELi2EEEvPT0_PKT_iS8_PKffii
; %bb.0:
	s_load_dword s2, s[4:5], 0x10
	s_load_dwordx2 s[0:1], s[4:5], 0x8
	s_load_dword s7, s[4:5], 0x30
	s_load_dword s12, s[4:5], 0x44
	s_mov_b32 s11, 0
	s_waitcnt lgkmcnt(0)
	s_mul_i32 s10, s6, s2
	s_lshl_b64 s[8:9], s[10:11], 1
	s_add_u32 s2, s0, s8
	s_addc_u32 s3, s1, s9
	s_and_b32 s20, s12, 0xffff
	s_and_b32 s10, s2, 3
	s_cmp_lg_u64 s[10:11], 0
	s_cselect_b64 s[10:11], -1, 0
	s_bitcmp1_b32 s7, 0
	s_cselect_b64 s[12:13], -1, 0
	s_or_b64 s[10:11], s[10:11], s[12:13]
	s_and_b64 vcc, exec, s[10:11]
	s_cbranch_vccz .LBB28_13
; %bb.1:
	s_sub_i32 s10, 0, s2
	s_bfe_u32 s10, s10, 0x10001
	s_min_i32 s10, s10, s7
	v_cmp_gt_i32_e32 vcc, s10, v0
	v_mov_b32_e32 v1, 0
	s_and_saveexec_b64 s[12:13], vcc
	s_cbranch_execz .LBB28_4
; %bb.2:
	s_lshl_b32 s11, s20, 1
	s_mov_b32 s16, 0
	v_mov_b32_e32 v2, 0
	s_mov_b64 s[14:15], s[2:3]
	v_mov_b32_e32 v1, 0
.LBB28_3:                               ; =>This Inner Loop Header: Depth=1
	global_load_ushort v3, v2, s[14:15]
	s_add_i32 s16, s16, s20
	s_add_u32 s14, s14, s11
	s_addc_u32 s15, s15, 0
	s_cmp_ge_i32 s16, s10
	s_waitcnt vmcnt(0)
	v_lshlrev_b32_e32 v3, 16, v3
	v_fmac_f32_e32 v1, v3, v3
	s_cbranch_scc0 .LBB28_3
.LBB28_4:
	s_or_b64 exec, exec, s[12:13]
	s_sub_i32 s16, s7, s10
	s_lshr_b32 s12, s16, 31
	s_add_i32 s12, s16, s12
	s_ashr_i32 s17, s12, 1
	s_ashr_i32 s11, s10, 31
	v_cmp_gt_i32_e32 vcc, s17, v0
	s_and_saveexec_b64 s[12:13], vcc
	s_cbranch_execz .LBB28_8
; %bb.5:
	s_lshl_b64 s[14:15], s[10:11], 1
	s_add_u32 s18, s0, s8
	s_addc_u32 s21, s1, s9
	s_add_u32 s14, s18, s14
	v_lshlrev_b32_e32 v2, 2, v0
	s_addc_u32 s15, s21, s15
	s_mov_b32 s19, 0
	v_mov_b32_e32 v3, s15
	v_add_co_u32_e32 v2, vcc, s14, v2
	v_addc_co_u32_e32 v3, vcc, 0, v3, vcc
	s_lshl_b32 s18, s20, 2
	s_mov_b64 s[14:15], 0
	v_mov_b32_e32 v4, s19
	v_mov_b32_e32 v5, v0
.LBB28_6:                               ; =>This Inner Loop Header: Depth=1
	global_load_dword v6, v[2:3], off
	v_add_co_u32_e32 v2, vcc, s18, v2
	v_add_u32_e32 v5, s20, v5
	v_addc_co_u32_e32 v3, vcc, v3, v4, vcc
	v_cmp_le_i32_e32 vcc, s17, v5
	s_or_b64 s[14:15], vcc, s[14:15]
	s_waitcnt vmcnt(0)
	v_and_b32_e32 v7, 0xffff0000, v6
	v_lshlrev_b32_e32 v6, 16, v6
	v_pk_mul_f32 v[6:7], v[6:7], v[6:7]
	v_add_f32_e32 v1, v1, v6
	v_add_f32_e32 v1, v1, v7
	s_andn2_b64 exec, exec, s[14:15]
	s_cbranch_execnz .LBB28_6
; %bb.7:
	s_or_b64 exec, exec, s[14:15]
.LBB28_8:
	s_or_b64 exec, exec, s[12:13]
	v_lshl_add_u32 v2, s17, 1, v0
	v_cmp_gt_i32_e32 vcc, s16, v2
	s_and_saveexec_b64 s[12:13], vcc
	s_cbranch_execz .LBB28_12
; %bb.9:
	s_lshl_b64 s[10:11], s[10:11], 1
	s_add_u32 s14, s0, s8
	s_addc_u32 s15, s1, s9
	v_ashrrev_i32_e32 v3, 31, v2
	s_add_u32 s10, s14, s10
	v_lshlrev_b64 v[4:5], 1, v[2:3]
	s_addc_u32 s11, s15, s11
	v_mov_b32_e32 v3, s11
	v_add_co_u32_e32 v4, vcc, s10, v4
	s_mov_b32 s15, 0
	v_addc_co_u32_e32 v5, vcc, v3, v5, vcc
	s_lshl_b32 s14, s20, 1
	s_mov_b64 s[10:11], 0
	v_mov_b32_e32 v3, s15
.LBB28_10:                              ; =>This Inner Loop Header: Depth=1
	global_load_ushort v6, v[4:5], off
	v_add_co_u32_e32 v4, vcc, s14, v4
	v_add_u32_e32 v2, s20, v2
	v_addc_co_u32_e32 v5, vcc, v5, v3, vcc
	v_cmp_le_i32_e32 vcc, s16, v2
	s_or_b64 s[10:11], vcc, s[10:11]
	s_waitcnt vmcnt(0)
	v_lshlrev_b32_e32 v6, 16, v6
	v_fmac_f32_e32 v1, v6, v6
	s_andn2_b64 exec, exec, s[10:11]
	s_cbranch_execnz .LBB28_10
; %bb.11:
	s_or_b64 exec, exec, s[10:11]
.LBB28_12:
	s_or_b64 exec, exec, s[12:13]
	s_branch .LBB28_19
.LBB28_13:
                                        ; implicit-def: $vgpr1
	s_cbranch_execz .LBB28_19
; %bb.14:
	s_ashr_i32 s12, s7, 1
	v_cmp_gt_i32_e32 vcc, s12, v0
	v_mov_b32_e32 v1, 0
	s_and_saveexec_b64 s[10:11], vcc
	s_cbranch_execz .LBB28_18
; %bb.15:
	s_add_u32 s0, s0, s8
	v_lshlrev_b32_e32 v1, 2, v0
	s_addc_u32 s1, s1, s9
	s_mov_b32 s13, 0
	v_mov_b32_e32 v3, s1
	v_add_co_u32_e32 v2, vcc, s0, v1
	v_addc_co_u32_e32 v3, vcc, 0, v3, vcc
	s_lshl_b32 s8, s20, 2
	s_mov_b64 s[0:1], 0
	v_mov_b32_e32 v1, 0
	v_mov_b32_e32 v4, s13
	;; [unrolled: 1-line block ×3, first 2 shown]
.LBB28_16:                              ; =>This Inner Loop Header: Depth=1
	global_load_dword v7, v[2:3], off
	v_add_co_u32_e32 v2, vcc, s8, v2
	v_add_u32_e32 v5, s20, v5
	v_addc_co_u32_e32 v3, vcc, v3, v4, vcc
	v_cmp_le_i32_e32 vcc, s12, v5
	s_or_b64 s[0:1], vcc, s[0:1]
	s_waitcnt vmcnt(0)
	v_and_b32_e32 v6, 0xffff0000, v7
	v_lshlrev_b32_e32 v7, 16, v7
	v_pk_mul_f32 v[6:7], v[6:7], v[6:7]
	v_add_f32_e32 v1, v1, v7
	v_add_f32_e32 v1, v6, v1
	s_andn2_b64 exec, exec, s[0:1]
	s_cbranch_execnz .LBB28_16
; %bb.17:
	s_or_b64 exec, exec, s[0:1]
.LBB28_18:
	s_or_b64 exec, exec, s[10:11]
.LBB28_19:
	v_mbcnt_lo_u32_b32 v2, -1, 0
	v_mbcnt_hi_u32_b32 v2, -1, v2
	v_and_b32_e32 v3, 63, v2
	v_cmp_ne_u32_e32 vcc, 63, v3
	v_addc_co_u32_e32 v4, vcc, 0, v2, vcc
	v_lshlrev_b32_e32 v4, 2, v4
	ds_bpermute_b32 v4, v4, v1
	v_and_b32_e32 v5, 0x3c0, v0
	v_sub_u32_e64 v5, s20, v5 clamp
	v_add_u32_e32 v6, 1, v2
	v_cmp_lt_u32_e32 vcc, v6, v5
	s_waitcnt lgkmcnt(0)
	v_add_f32_e32 v4, v1, v4
	v_cndmask_b32_e32 v1, v1, v4, vcc
	v_cmp_gt_u32_e32 vcc, 62, v3
	v_cndmask_b32_e64 v4, 0, 1, vcc
	v_lshlrev_b32_e32 v4, 1, v4
	v_add_lshl_u32 v4, v4, v2, 2
	ds_bpermute_b32 v4, v4, v1
	v_add_u32_e32 v6, 2, v2
	v_cmp_lt_u32_e32 vcc, v6, v5
	v_add_u32_e32 v6, 4, v2
	s_waitcnt lgkmcnt(0)
	v_add_f32_e32 v4, v1, v4
	v_cndmask_b32_e32 v1, v1, v4, vcc
	v_cmp_gt_u32_e32 vcc, 60, v3
	v_cndmask_b32_e64 v4, 0, 1, vcc
	v_lshlrev_b32_e32 v4, 2, v4
	v_add_lshl_u32 v4, v4, v2, 2
	ds_bpermute_b32 v4, v4, v1
	v_cmp_lt_u32_e32 vcc, v6, v5
	v_add_u32_e32 v6, 8, v2
	s_waitcnt lgkmcnt(0)
	v_add_f32_e32 v4, v1, v4
	v_cndmask_b32_e32 v1, v1, v4, vcc
	v_cmp_gt_u32_e32 vcc, 56, v3
	v_cndmask_b32_e64 v4, 0, 1, vcc
	v_lshlrev_b32_e32 v4, 3, v4
	v_add_lshl_u32 v4, v4, v2, 2
	ds_bpermute_b32 v4, v4, v1
	;; [unrolled: 10-line block ×3, first 2 shown]
	v_cmp_lt_u32_e32 vcc, v6, v5
	s_waitcnt lgkmcnt(0)
	v_add_f32_e32 v4, v1, v4
	v_cndmask_b32_e32 v1, v1, v4, vcc
	v_cmp_gt_u32_e32 vcc, 32, v3
	v_cndmask_b32_e64 v3, 0, 1, vcc
	v_lshlrev_b32_e32 v3, 5, v3
	v_add_lshl_u32 v3, v3, v2, 2
	ds_bpermute_b32 v3, v3, v1
	v_add_u32_e32 v4, 32, v2
	v_cmp_lt_u32_e32 vcc, v4, v5
	s_waitcnt lgkmcnt(0)
	v_add_f32_e32 v3, v1, v3
	v_cndmask_b32_e32 v1, v1, v3, vcc
	v_cmp_eq_u32_e32 vcc, 0, v2
	s_and_saveexec_b64 s[0:1], vcc
	s_cbranch_execz .LBB28_21
; %bb.20:
	v_lshrrev_b32_e32 v3, 4, v0
	v_and_b32_e32 v3, 60, v3
	ds_write_b32 v3, v1
.LBB28_21:
	s_or_b64 exec, exec, s[0:1]
	v_cmp_gt_u32_e32 vcc, 16, v0
	s_waitcnt lgkmcnt(0)
	s_barrier
	s_and_saveexec_b64 s[8:9], vcc
	s_cbranch_execz .LBB28_23
; %bb.22:
	v_lshlrev_b32_e32 v1, 2, v2
	ds_read_b32 v1, v1
	v_and_b32_e32 v3, 15, v2
	v_cmp_ne_u32_e32 vcc, 15, v3
	v_addc_co_u32_e32 v4, vcc, 0, v2, vcc
	v_lshlrev_b32_e32 v4, 2, v4
	s_waitcnt lgkmcnt(0)
	ds_bpermute_b32 v4, v4, v1
	s_add_i32 s0, s20, 63
	s_lshr_b32 s10, s0, 6
	v_add_u32_e32 v5, 1, v3
	v_cmp_gt_u32_e64 s[0:1], 14, v3
	v_cmp_gt_u32_e32 vcc, s10, v5
	v_cndmask_b32_e64 v5, 0, 1, s[0:1]
	s_waitcnt lgkmcnt(0)
	v_add_f32_e32 v4, v1, v4
	v_lshlrev_b32_e32 v5, 1, v5
	v_cndmask_b32_e32 v4, v1, v4, vcc
	v_add_lshl_u32 v5, v5, v2, 2
	ds_bpermute_b32 v5, v5, v4
	v_add_u32_e32 v6, 2, v3
	v_cmp_gt_u32_e64 s[0:1], s10, v6
	v_add_u32_e32 v6, 4, v3
	s_waitcnt lgkmcnt(0)
	v_add_f32_e32 v5, v4, v5
	v_cndmask_b32_e64 v4, v4, v5, s[0:1]
	v_cmp_gt_u32_e64 s[0:1], 12, v3
	v_cndmask_b32_e64 v5, 0, 1, s[0:1]
	v_lshlrev_b32_e32 v5, 2, v5
	v_add_lshl_u32 v5, v5, v2, 2
	ds_bpermute_b32 v5, v5, v4
	v_cmp_gt_u32_e64 s[0:1], s10, v6
	s_waitcnt lgkmcnt(0)
	v_add_f32_e32 v5, v4, v5
	v_cndmask_b32_e64 v4, v4, v5, s[0:1]
	v_cmp_gt_u32_e64 s[0:1], 8, v3
	v_cndmask_b32_e64 v5, 0, 1, s[0:1]
	v_lshlrev_b32_e32 v5, 3, v5
	v_add_lshl_u32 v2, v5, v2, 2
	ds_bpermute_b32 v2, v2, v4
	v_add_u32_e32 v3, 8, v3
	v_cmp_gt_u32_e64 s[0:1], s10, v3
	s_waitcnt lgkmcnt(0)
	v_add_f32_e32 v2, v4, v2
	v_cndmask_b32_e64 v2, v4, v2, s[0:1]
	v_cndmask_b32_e32 v1, v1, v2, vcc
.LBB28_23:
	s_or_b64 exec, exec, s[8:9]
	v_cmp_eq_u32_e32 vcc, 0, v0
	s_and_saveexec_b64 s[0:1], vcc
	s_cbranch_execz .LBB28_25
; %bb.24:
	v_cvt_f32_i32_e32 v2, s7
	s_load_dword s10, s[4:5], 0x28
	v_div_scale_f32 v3, s[8:9], v2, v2, v1
	v_rcp_f32_e32 v4, v3
	v_div_scale_f32 v5, vcc, v1, v2, v1
	s_mov_b32 s8, 0x800000
	v_fma_f32 v6, -v3, v4, 1.0
	v_fmac_f32_e32 v4, v6, v4
	v_mul_f32_e32 v6, v5, v4
	v_fma_f32 v7, -v3, v6, v5
	v_fmac_f32_e32 v6, v7, v4
	v_fma_f32 v3, -v3, v6, v5
	v_div_fmas_f32 v3, v3, v4, v6
	v_div_fixup_f32 v1, v3, v2, v1
	s_waitcnt lgkmcnt(0)
	v_add_f32_e32 v1, s10, v1
	v_mul_f32_e32 v2, 0x4b800000, v1
	v_cmp_gt_f32_e32 vcc, s8, v1
	v_cndmask_b32_e32 v1, v1, v2, vcc
	v_rsq_f32_e32 v1, v1
	v_mul_f32_e32 v2, 0x45800000, v1
	v_cndmask_b32_e32 v1, v1, v2, vcc
	v_mov_b32_e32 v2, 0
	ds_write_b32 v2, v1 offset:64
.LBB28_25:
	s_or_b64 exec, exec, s[0:1]
	s_lshr_b32 s0, s7, 31
	s_add_i32 s0, s7, s0
	s_ashr_i32 s21, s0, 1
	v_cmp_gt_i32_e32 vcc, s21, v0
	s_waitcnt lgkmcnt(0)
	s_barrier
	s_and_saveexec_b64 s[0:1], vcc
	s_cbranch_execz .LBB28_48
; %bb.26:
	s_load_dwordx4 s[8:11], s[4:5], 0x18
	s_load_dwordx2 s[12:13], s[4:5], 0x0
	v_mov_b32_e32 v3, 0
	ds_read_b32 v1, v3 offset:64
	s_mul_i32 s6, s6, s7
	s_waitcnt lgkmcnt(0)
	s_load_dword s4, s[10:11], 0x0
	v_lshlrev_b32_e32 v2, 2, v0
	s_lshl_b32 s22, s20, 1
	v_lshl_add_u32 v8, v0, 1, s6
	s_mov_b32 s23, 0
	s_waitcnt lgkmcnt(0)
	v_div_scale_f32 v4, s[0:1], s4, s4, 1.0
	v_rcp_f32_e32 v5, v4
	v_div_scale_f32 v6, vcc, 1.0, s4, 1.0
	s_lshl_b32 s24, s20, 2
	v_fma_f32 v7, -v4, v5, 1.0
	v_fmac_f32_e32 v5, v7, v5
	v_mul_f32_e32 v7, v6, v5
	v_fma_f32 v9, -v4, v7, v6
	v_fmac_f32_e32 v7, v9, v5
	v_fma_f32 v4, -v4, v7, v6
	v_div_fmas_f32 v4, v4, v5, v7
	v_div_fixup_f32 v9, v4, s4, 1.0
	s_mov_b64 s[4:5], 0
	v_mov_b32_e32 v10, s3
	v_mov_b32_e32 v11, s9
	s_movk_i32 s3, 0x7fff
	v_mov_b32_e32 v12, 0x7fc00000
	s_movk_i32 s9, 0x7f
	s_mov_b64 s[6:7], 0x7f800000
	s_mov_b64 s[10:11], 0x43700001
	s_movk_i32 s25, 0x78
	s_movk_i32 s26, 0x80
	v_mov_b32_e32 v13, 0x77
	v_mov_b32_e32 v14, 0xffffff8a
	v_pk_mov_b32 v[4:5], v[2:3], v[2:3] op_sel:[0,1]
	s_branch .LBB28_31
.LBB28_27:                              ;   in Loop: Header=BB28_31 Depth=1
	s_or_b64 exec, exec, s[0:1]
	v_lshrrev_b64 v[6:7], 20, v[6:7]
	v_cmp_gt_i32_e32 vcc, 16, v2
	v_and_b32_sdwa v15, v15, s26 dst_sel:DWORD dst_unused:UNUSED_PAD src0_sel:BYTE_3 src1_sel:DWORD
	v_min_i32_e32 v16, 15, v2
	v_cndmask_b32_e32 v7, 0, v7, vcc
	v_cndmask_b32_e32 v6, 7, v6, vcc
	v_cmp_eq_u32_e32 vcc, 0, v2
	v_cmp_eq_u64_e64 s[0:1], 0, v[6:7]
	v_lshl_or_b32 v2, v16, 3, v15
	v_and_or_b32 v2, v6, 7, v2
	s_and_b64 s[0:1], vcc, s[0:1]
	v_cndmask_b32_e64 v6, v2, 0, s[0:1]
.LBB28_28:                              ;   in Loop: Header=BB28_31 Depth=1
	s_or_b64 exec, exec, s[18:19]
.LBB28_29:                              ;   in Loop: Header=BB28_31 Depth=1
	s_andn2_saveexec_b64 s[0:1], s[16:17]
	s_or_b64 exec, exec, s[0:1]
.LBB28_30:                              ;   in Loop: Header=BB28_31 Depth=1
	s_andn2_saveexec_b64 s[0:1], s[14:15]
	s_or_b64 exec, exec, s[0:1]
	v_add_u32_e32 v0, s20, v0
	v_add_u32_e32 v2, 1, v8
	v_cmp_le_i32_e32 vcc, s21, v0
	global_store_byte v2, v6, s[12:13]
	v_mov_b32_e32 v2, s23
	s_or_b64 s[4:5], vcc, s[4:5]
	v_add_co_u32_e32 v4, vcc, s24, v4
	v_add_u32_e32 v8, s22, v8
	v_addc_co_u32_e32 v5, vcc, v5, v2, vcc
	s_andn2_b64 exec, exec, s[4:5]
	s_cbranch_execz .LBB28_48
.LBB28_31:                              ; =>This Inner Loop Header: Depth=1
	v_add_co_u32_e32 v6, vcc, s2, v4
	v_addc_co_u32_e32 v7, vcc, v10, v5, vcc
	global_load_dword v15, v[6:7], off
	v_add_co_u32_e32 v6, vcc, s8, v4
	v_addc_co_u32_e32 v7, vcc, v11, v5, vcc
	global_load_dword v16, v[6:7], off
	s_waitcnt vmcnt(1)
	v_lshlrev_b32_e32 v2, 16, v15
	v_mul_f32_e32 v2, v1, v2
	v_bfe_u32 v7, v2, 16, 1
	v_add3_u32 v7, v2, v7, s3
	v_and_b32_e32 v7, 0xffff0000, v7
	v_cmp_o_f32_e32 vcc, v2, v2
	s_waitcnt vmcnt(0)
	v_lshlrev_b32_e32 v6, 16, v16
	v_cndmask_b32_e32 v2, v12, v7, vcc
	v_mul_f32_e32 v2, v2, v6
	v_bfe_u32 v6, v2, 16, 1
	v_add3_u32 v6, v2, v6, s3
	v_and_b32_e32 v6, 0xffff0000, v6
	v_cmp_o_f32_e32 vcc, v2, v2
	v_cndmask_b32_e32 v2, v12, v6, vcc
	v_mul_f32_e32 v2, v9, v2
	v_min_f32_e32 v2, 0x43600000, v2
	v_max_f32_e32 v17, 0xc3600000, v2
	v_and_b32_e32 v2, 0x7f800000, v17
	v_or_b32_sdwa v6, v17, s9 dst_sel:DWORD dst_unused:UNUSED_PAD src0_sel:BYTE_3 src1_sel:DWORD
	v_cmp_ne_u64_e32 vcc, s[6:7], v[2:3]
	s_and_saveexec_b64 s[0:1], vcc
	s_xor_b64 s[14:15], exec, s[0:1]
	s_cbranch_execz .LBB28_41
; %bb.32:                               ;   in Loop: Header=BB28_31 Depth=1
	v_and_b32_e32 v2, 0x7fffffff, v17
	v_cmp_gt_u64_e32 vcc, s[10:11], v[2:3]
	s_and_saveexec_b64 s[0:1], vcc
	s_xor_b64 s[16:17], exec, s[0:1]
	s_cbranch_execz .LBB28_40
; %bb.33:                               ;   in Loop: Header=BB28_31 Depth=1
	v_cmp_ne_u32_e32 vcc, 0, v17
	v_mov_b32_e32 v6, 0
	s_and_saveexec_b64 s[18:19], vcc
	s_cbranch_execz .LBB28_39
; %bb.34:                               ;   in Loop: Header=BB28_31 Depth=1
	v_bfe_u32 v6, v17, 23, 8
	v_sub_u32_e64 v7, s25, v6 clamp
	v_cmp_eq_u32_e32 vcc, 0, v6
	v_cndmask_b32_e32 v21, v7, v13, vcc
	v_and_b32_e32 v2, 0x7fffff, v17
	v_add_u32_e32 v20, 0xffffff89, v6
	v_add_u32_e32 v6, 20, v21
	v_or_b32_e32 v18, 0x800000, v2
	v_lshlrev_b64 v[6:7], v6, -1
	v_cndmask_b32_e32 v2, v18, v2, vcc
	v_not_b32_e32 v6, v6
	v_add_u32_e32 v18, 19, v21
	v_and_b32_e32 v6, v2, v6
	v_mov_b32_e32 v7, v3
	v_lshlrev_b64 v[18:19], v18, 1
	v_cmp_eq_u64_e64 s[0:1], v[6:7], v[18:19]
	v_lshrrev_b64 v[6:7], v21, v[2:3]
	v_cndmask_b32_e32 v2, v20, v14, vcc
	v_lshrrev_b32_e32 v18, 23, v6
	v_add3_u32 v18, v2, v21, v18
	v_and_b32_e32 v2, 0x100000, v6
	v_cmp_eq_u64_e32 vcc, 0, v[2:3]
	s_and_b64 vcc, vcc, s[0:1]
	v_subbrev_co_u32_e32 v2, vcc, 0, v6, vcc
	v_and_b32_e32 v2, 0xfffff, v2
	v_add_co_u32_e32 v6, vcc, v2, v6
	v_add_u32_e32 v19, -1, v18
	v_addc_co_u32_e32 v7, vcc, 0, v7, vcc
	v_cmp_ne_u32_e32 vcc, 0, v19
                                        ; implicit-def: $vgpr2
	s_and_saveexec_b64 s[0:1], vcc
	s_xor_b64 s[0:1], exec, s[0:1]
; %bb.35:                               ;   in Loop: Header=BB28_31 Depth=1
	v_and_b32_e32 v2, 0x1000000, v6
	v_cmp_eq_u64_e32 vcc, 0, v[2:3]
	v_cndmask_b32_e32 v2, v18, v19, vcc
	v_bfe_u32 v18, v6, 24, 1
	v_lshrrev_b64 v[6:7], v18, v[6:7]
; %bb.36:                               ;   in Loop: Header=BB28_31 Depth=1
	s_andn2_saveexec_b64 s[0:1], s[0:1]
; %bb.37:                               ;   in Loop: Header=BB28_31 Depth=1
	v_bfe_u32 v2, v6, 23, 1
; %bb.38:                               ;   in Loop: Header=BB28_31 Depth=1
	s_or_b64 exec, exec, s[0:1]
	v_lshrrev_b64 v[6:7], 20, v[6:7]
	v_cmp_gt_i32_e32 vcc, 16, v2
	v_and_b32_sdwa v17, v17, s26 dst_sel:DWORD dst_unused:UNUSED_PAD src0_sel:BYTE_3 src1_sel:DWORD
	v_min_i32_e32 v18, 15, v2
	v_cndmask_b32_e32 v7, 0, v7, vcc
	v_cndmask_b32_e32 v6, 7, v6, vcc
	v_cmp_eq_u32_e32 vcc, 0, v2
	v_cmp_eq_u64_e64 s[0:1], 0, v[6:7]
	v_lshl_or_b32 v2, v18, 3, v17
	v_and_or_b32 v2, v6, 7, v2
	s_and_b64 s[0:1], vcc, s[0:1]
	v_cndmask_b32_e64 v6, v2, 0, s[0:1]
.LBB28_39:                              ;   in Loop: Header=BB28_31 Depth=1
	s_or_b64 exec, exec, s[18:19]
.LBB28_40:                              ;   in Loop: Header=BB28_31 Depth=1
	s_andn2_saveexec_b64 s[0:1], s[16:17]
	s_or_b64 exec, exec, s[0:1]
.LBB28_41:                              ;   in Loop: Header=BB28_31 Depth=1
	s_andn2_saveexec_b64 s[0:1], s[14:15]
	s_or_b64 exec, exec, s[0:1]
	v_and_b32_e32 v2, 0xffff0000, v15
	v_mul_f32_e32 v2, v1, v2
	global_store_byte v8, v6, s[12:13]
	v_bfe_u32 v6, v2, 16, 1
	v_add3_u32 v6, v2, v6, s3
	v_and_b32_e32 v6, 0xffff0000, v6
	v_cmp_o_f32_e32 vcc, v2, v2
	v_and_b32_e32 v7, 0xffff0000, v16
	v_cndmask_b32_e32 v2, v12, v6, vcc
	v_mul_f32_e32 v2, v2, v7
	v_bfe_u32 v6, v2, 16, 1
	v_add3_u32 v6, v2, v6, s3
	v_and_b32_e32 v6, 0xffff0000, v6
	v_cmp_o_f32_e32 vcc, v2, v2
	v_cndmask_b32_e32 v2, v12, v6, vcc
	v_mul_f32_e32 v2, v9, v2
	v_min_f32_e32 v2, 0x43600000, v2
	v_max_f32_e32 v15, 0xc3600000, v2
	v_and_b32_e32 v2, 0x7f800000, v15
	v_or_b32_sdwa v6, v15, s9 dst_sel:DWORD dst_unused:UNUSED_PAD src0_sel:BYTE_3 src1_sel:DWORD
	v_cmp_ne_u64_e32 vcc, s[6:7], v[2:3]
	s_and_saveexec_b64 s[0:1], vcc
	s_xor_b64 s[14:15], exec, s[0:1]
	s_cbranch_execz .LBB28_30
; %bb.42:                               ;   in Loop: Header=BB28_31 Depth=1
	v_and_b32_e32 v2, 0x7fffffff, v15
	v_cmp_gt_u64_e32 vcc, s[10:11], v[2:3]
	s_and_saveexec_b64 s[0:1], vcc
	s_xor_b64 s[16:17], exec, s[0:1]
	s_cbranch_execz .LBB28_29
; %bb.43:                               ;   in Loop: Header=BB28_31 Depth=1
	v_cmp_ne_u32_e32 vcc, 0, v15
	v_mov_b32_e32 v6, 0
	s_and_saveexec_b64 s[18:19], vcc
	s_cbranch_execz .LBB28_28
; %bb.44:                               ;   in Loop: Header=BB28_31 Depth=1
	v_bfe_u32 v6, v15, 23, 8
	v_sub_u32_e64 v7, s25, v6 clamp
	v_cmp_eq_u32_e32 vcc, 0, v6
	v_cndmask_b32_e32 v19, v7, v13, vcc
	v_and_b32_e32 v2, 0x7fffff, v15
	v_add_u32_e32 v18, 0xffffff89, v6
	v_add_u32_e32 v6, 20, v19
	v_or_b32_e32 v16, 0x800000, v2
	v_lshlrev_b64 v[6:7], v6, -1
	v_cndmask_b32_e32 v2, v16, v2, vcc
	v_not_b32_e32 v6, v6
	v_add_u32_e32 v16, 19, v19
	v_and_b32_e32 v6, v2, v6
	v_mov_b32_e32 v7, v3
	v_lshlrev_b64 v[16:17], v16, 1
	v_cmp_eq_u64_e64 s[0:1], v[6:7], v[16:17]
	v_lshrrev_b64 v[6:7], v19, v[2:3]
	v_cndmask_b32_e32 v2, v18, v14, vcc
	v_lshrrev_b32_e32 v16, 23, v6
	v_add3_u32 v16, v2, v19, v16
	v_and_b32_e32 v2, 0x100000, v6
	v_cmp_eq_u64_e32 vcc, 0, v[2:3]
	s_and_b64 vcc, vcc, s[0:1]
	v_subbrev_co_u32_e32 v2, vcc, 0, v6, vcc
	v_and_b32_e32 v2, 0xfffff, v2
	v_add_co_u32_e32 v6, vcc, v2, v6
	v_add_u32_e32 v17, -1, v16
	v_addc_co_u32_e32 v7, vcc, 0, v7, vcc
	v_cmp_ne_u32_e32 vcc, 0, v17
                                        ; implicit-def: $vgpr2
	s_and_saveexec_b64 s[0:1], vcc
	s_xor_b64 s[0:1], exec, s[0:1]
; %bb.45:                               ;   in Loop: Header=BB28_31 Depth=1
	v_and_b32_e32 v2, 0x1000000, v6
	v_cmp_eq_u64_e32 vcc, 0, v[2:3]
	v_cndmask_b32_e32 v2, v16, v17, vcc
	v_bfe_u32 v16, v6, 24, 1
	v_lshrrev_b64 v[6:7], v16, v[6:7]
; %bb.46:                               ;   in Loop: Header=BB28_31 Depth=1
	s_andn2_saveexec_b64 s[0:1], s[0:1]
	s_cbranch_execz .LBB28_27
; %bb.47:                               ;   in Loop: Header=BB28_31 Depth=1
	v_bfe_u32 v2, v6, 23, 1
	s_branch .LBB28_27
.LBB28_48:
	s_endpgm
	.section	.rodata,"a",@progbits
	.p2align	6, 0x0
	.amdhsa_kernel _ZN4vllm32rms_norm_static_fp8_quant_kernelIN3c108BFloat16ENS1_15Float8_e4m3fnuzELi2EEEvPT0_PKT_iS8_PKffii
		.amdhsa_group_segment_fixed_size 68
		.amdhsa_private_segment_fixed_size 0
		.amdhsa_kernarg_size 312
		.amdhsa_user_sgpr_count 6
		.amdhsa_user_sgpr_private_segment_buffer 1
		.amdhsa_user_sgpr_dispatch_ptr 0
		.amdhsa_user_sgpr_queue_ptr 0
		.amdhsa_user_sgpr_kernarg_segment_ptr 1
		.amdhsa_user_sgpr_dispatch_id 0
		.amdhsa_user_sgpr_flat_scratch_init 0
		.amdhsa_user_sgpr_kernarg_preload_length 0
		.amdhsa_user_sgpr_kernarg_preload_offset 0
		.amdhsa_user_sgpr_private_segment_size 0
		.amdhsa_uses_dynamic_stack 0
		.amdhsa_system_sgpr_private_segment_wavefront_offset 0
		.amdhsa_system_sgpr_workgroup_id_x 1
		.amdhsa_system_sgpr_workgroup_id_y 0
		.amdhsa_system_sgpr_workgroup_id_z 0
		.amdhsa_system_sgpr_workgroup_info 0
		.amdhsa_system_vgpr_workitem_id 0
		.amdhsa_next_free_vgpr 22
		.amdhsa_next_free_sgpr 27
		.amdhsa_accum_offset 24
		.amdhsa_reserve_vcc 1
		.amdhsa_reserve_flat_scratch 0
		.amdhsa_float_round_mode_32 0
		.amdhsa_float_round_mode_16_64 0
		.amdhsa_float_denorm_mode_32 3
		.amdhsa_float_denorm_mode_16_64 3
		.amdhsa_dx10_clamp 1
		.amdhsa_ieee_mode 1
		.amdhsa_fp16_overflow 0
		.amdhsa_tg_split 0
		.amdhsa_exception_fp_ieee_invalid_op 0
		.amdhsa_exception_fp_denorm_src 0
		.amdhsa_exception_fp_ieee_div_zero 0
		.amdhsa_exception_fp_ieee_overflow 0
		.amdhsa_exception_fp_ieee_underflow 0
		.amdhsa_exception_fp_ieee_inexact 0
		.amdhsa_exception_int_div_zero 0
	.end_amdhsa_kernel
	.section	.text._ZN4vllm32rms_norm_static_fp8_quant_kernelIN3c108BFloat16ENS1_15Float8_e4m3fnuzELi2EEEvPT0_PKT_iS8_PKffii,"axG",@progbits,_ZN4vllm32rms_norm_static_fp8_quant_kernelIN3c108BFloat16ENS1_15Float8_e4m3fnuzELi2EEEvPT0_PKT_iS8_PKffii,comdat
.Lfunc_end28:
	.size	_ZN4vllm32rms_norm_static_fp8_quant_kernelIN3c108BFloat16ENS1_15Float8_e4m3fnuzELi2EEEvPT0_PKT_iS8_PKffii, .Lfunc_end28-_ZN4vllm32rms_norm_static_fp8_quant_kernelIN3c108BFloat16ENS1_15Float8_e4m3fnuzELi2EEEvPT0_PKT_iS8_PKffii
                                        ; -- End function
	.section	.AMDGPU.csdata,"",@progbits
; Kernel info:
; codeLenInByte = 2800
; NumSgprs: 31
; NumVgprs: 22
; NumAgprs: 0
; TotalNumVgprs: 22
; ScratchSize: 0
; MemoryBound: 0
; FloatMode: 240
; IeeeMode: 1
; LDSByteSize: 68 bytes/workgroup (compile time only)
; SGPRBlocks: 3
; VGPRBlocks: 2
; NumSGPRsForWavesPerEU: 31
; NumVGPRsForWavesPerEU: 22
; AccumOffset: 24
; Occupancy: 8
; WaveLimiterHint : 0
; COMPUTE_PGM_RSRC2:SCRATCH_EN: 0
; COMPUTE_PGM_RSRC2:USER_SGPR: 6
; COMPUTE_PGM_RSRC2:TRAP_HANDLER: 0
; COMPUTE_PGM_RSRC2:TGID_X_EN: 1
; COMPUTE_PGM_RSRC2:TGID_Y_EN: 0
; COMPUTE_PGM_RSRC2:TGID_Z_EN: 0
; COMPUTE_PGM_RSRC2:TIDIG_COMP_CNT: 0
; COMPUTE_PGM_RSRC3_GFX90A:ACCUM_OFFSET: 5
; COMPUTE_PGM_RSRC3_GFX90A:TG_SPLIT: 0
	.section	.text._ZN4vllm32rms_norm_static_fp8_quant_kernelIN3c108BFloat16ENS1_15Float8_e4m3fnuzELi1EEEvPT0_PKT_iS8_PKffii,"axG",@progbits,_ZN4vllm32rms_norm_static_fp8_quant_kernelIN3c108BFloat16ENS1_15Float8_e4m3fnuzELi1EEEvPT0_PKT_iS8_PKffii,comdat
	.protected	_ZN4vllm32rms_norm_static_fp8_quant_kernelIN3c108BFloat16ENS1_15Float8_e4m3fnuzELi1EEEvPT0_PKT_iS8_PKffii ; -- Begin function _ZN4vllm32rms_norm_static_fp8_quant_kernelIN3c108BFloat16ENS1_15Float8_e4m3fnuzELi1EEEvPT0_PKT_iS8_PKffii
	.globl	_ZN4vllm32rms_norm_static_fp8_quant_kernelIN3c108BFloat16ENS1_15Float8_e4m3fnuzELi1EEEvPT0_PKT_iS8_PKffii
	.p2align	8
	.type	_ZN4vllm32rms_norm_static_fp8_quant_kernelIN3c108BFloat16ENS1_15Float8_e4m3fnuzELi1EEEvPT0_PKT_iS8_PKffii,@function
_ZN4vllm32rms_norm_static_fp8_quant_kernelIN3c108BFloat16ENS1_15Float8_e4m3fnuzELi1EEEvPT0_PKT_iS8_PKffii: ; @_ZN4vllm32rms_norm_static_fp8_quant_kernelIN3c108BFloat16ENS1_15Float8_e4m3fnuzELi1EEEvPT0_PKT_iS8_PKffii
; %bb.0:
	s_load_dword s0, s[4:5], 0x10
	s_load_dwordx2 s[2:3], s[4:5], 0x8
	s_load_dword s18, s[4:5], 0x30
	s_load_dword s10, s[4:5], 0x44
	s_mov_b32 s1, 0
	s_waitcnt lgkmcnt(0)
	s_mul_i32 s0, s6, s0
	s_lshl_b64 s[8:9], s[0:1], 1
	s_add_u32 s19, s2, s8
	s_addc_u32 s7, s3, s9
	s_and_b32 s20, s10, 0xffff
	s_bitcmp1_b32 s19, 0
	s_cselect_b64 s[0:1], -1, 0
	s_and_b64 vcc, exec, s[0:1]
	s_cbranch_vccz .LBB29_6
; %bb.1:
	s_min_i32 s10, s18, 0
	s_sub_i32 s12, s18, s10
	v_cmp_gt_i32_e32 vcc, s12, v0
	v_mov_b32_e32 v4, 0
	s_and_saveexec_b64 s[0:1], vcc
	s_cbranch_execz .LBB29_5
; %bb.2:
	s_ashr_i32 s11, s10, 31
	s_lshl_b64 s[10:11], s[10:11], 1
	s_add_u32 s13, s2, s8
	s_addc_u32 s15, s3, s9
	s_add_u32 s10, s13, s10
	v_lshlrev_b32_e32 v1, 1, v0
	s_addc_u32 s11, s15, s11
	s_mov_b32 s14, 0
	v_mov_b32_e32 v3, s11
	v_add_co_u32_e32 v2, vcc, s10, v1
	v_addc_co_u32_e32 v3, vcc, 0, v3, vcc
	s_lshl_b32 s13, s20, 1
	s_mov_b64 s[10:11], 0
	v_mov_b32_e32 v4, 0
	v_mov_b32_e32 v1, s14
	v_mov_b32_e32 v5, v0
.LBB29_3:                               ; =>This Inner Loop Header: Depth=1
	global_load_ushort v6, v[2:3], off
	v_add_co_u32_e32 v2, vcc, s13, v2
	v_add_u32_e32 v5, s20, v5
	v_addc_co_u32_e32 v3, vcc, v3, v1, vcc
	v_cmp_le_i32_e32 vcc, s12, v5
	s_or_b64 s[10:11], vcc, s[10:11]
	s_waitcnt vmcnt(0)
	v_lshlrev_b32_e32 v6, 16, v6
	v_fmac_f32_e32 v4, v6, v6
	s_andn2_b64 exec, exec, s[10:11]
	s_cbranch_execnz .LBB29_3
; %bb.4:
	s_or_b64 exec, exec, s[10:11]
.LBB29_5:
	s_or_b64 exec, exec, s[0:1]
	v_cmp_gt_i32_e64 s[0:1], s18, v0
	s_cbranch_execz .LBB29_7
	s_branch .LBB29_12
.LBB29_6:
                                        ; implicit-def: $vgpr4
	v_cmp_gt_i32_e64 s[0:1], s18, v0
.LBB29_7:
	v_mov_b32_e32 v4, 0
	s_and_saveexec_b64 s[10:11], s[0:1]
	s_cbranch_execz .LBB29_11
; %bb.8:
	s_add_u32 s0, s2, s8
	v_lshlrev_b32_e32 v1, 1, v0
	s_addc_u32 s1, s3, s9
	s_mov_b32 s12, 0
	v_mov_b32_e32 v3, s1
	v_add_co_u32_e32 v2, vcc, s0, v1
	v_addc_co_u32_e32 v3, vcc, 0, v3, vcc
	s_lshl_b32 s2, s20, 1
	s_mov_b64 s[0:1], 0
	v_mov_b32_e32 v4, 0
	v_mov_b32_e32 v1, s12
	;; [unrolled: 1-line block ×3, first 2 shown]
.LBB29_9:                               ; =>This Inner Loop Header: Depth=1
	global_load_ushort v6, v[2:3], off
	v_add_co_u32_e32 v2, vcc, s2, v2
	v_add_u32_e32 v5, s20, v5
	v_addc_co_u32_e32 v3, vcc, v3, v1, vcc
	v_cmp_le_i32_e32 vcc, s18, v5
	s_or_b64 s[0:1], vcc, s[0:1]
	s_waitcnt vmcnt(0)
	v_lshlrev_b32_e32 v6, 16, v6
	v_fmac_f32_e32 v4, v6, v6
	s_andn2_b64 exec, exec, s[0:1]
	s_cbranch_execnz .LBB29_9
; %bb.10:
	s_or_b64 exec, exec, s[0:1]
.LBB29_11:
	s_or_b64 exec, exec, s[10:11]
.LBB29_12:
	v_mbcnt_lo_u32_b32 v1, -1, 0
	v_mbcnt_hi_u32_b32 v1, -1, v1
	v_and_b32_e32 v2, 63, v1
	v_cmp_ne_u32_e32 vcc, 63, v2
	v_addc_co_u32_e32 v3, vcc, 0, v1, vcc
	v_lshlrev_b32_e32 v3, 2, v3
	ds_bpermute_b32 v3, v3, v4
	v_and_b32_e32 v5, 0x3c0, v0
	v_sub_u32_e64 v5, s20, v5 clamp
	v_add_u32_e32 v6, 1, v1
	v_cmp_lt_u32_e32 vcc, v6, v5
	s_waitcnt lgkmcnt(0)
	v_add_f32_e32 v3, v4, v3
	v_cndmask_b32_e32 v3, v4, v3, vcc
	v_cmp_gt_u32_e32 vcc, 62, v2
	v_cndmask_b32_e64 v4, 0, 1, vcc
	v_lshlrev_b32_e32 v4, 1, v4
	v_add_lshl_u32 v4, v4, v1, 2
	ds_bpermute_b32 v4, v4, v3
	v_add_u32_e32 v6, 2, v1
	v_cmp_lt_u32_e32 vcc, v6, v5
	v_add_u32_e32 v6, 4, v1
	s_waitcnt lgkmcnt(0)
	v_add_f32_e32 v4, v3, v4
	v_cndmask_b32_e32 v3, v3, v4, vcc
	v_cmp_gt_u32_e32 vcc, 60, v2
	v_cndmask_b32_e64 v4, 0, 1, vcc
	v_lshlrev_b32_e32 v4, 2, v4
	v_add_lshl_u32 v4, v4, v1, 2
	ds_bpermute_b32 v4, v4, v3
	v_cmp_lt_u32_e32 vcc, v6, v5
	v_add_u32_e32 v6, 8, v1
	s_waitcnt lgkmcnt(0)
	v_add_f32_e32 v4, v3, v4
	v_cndmask_b32_e32 v3, v3, v4, vcc
	v_cmp_gt_u32_e32 vcc, 56, v2
	v_cndmask_b32_e64 v4, 0, 1, vcc
	v_lshlrev_b32_e32 v4, 3, v4
	v_add_lshl_u32 v4, v4, v1, 2
	ds_bpermute_b32 v4, v4, v3
	;; [unrolled: 10-line block ×3, first 2 shown]
	v_cmp_lt_u32_e32 vcc, v6, v5
	s_waitcnt lgkmcnt(0)
	v_add_f32_e32 v4, v3, v4
	v_cndmask_b32_e32 v3, v3, v4, vcc
	v_cmp_gt_u32_e32 vcc, 32, v2
	v_cndmask_b32_e64 v2, 0, 1, vcc
	v_lshlrev_b32_e32 v2, 5, v2
	v_add_lshl_u32 v2, v2, v1, 2
	ds_bpermute_b32 v2, v2, v3
	v_add_u32_e32 v4, 32, v1
	v_cmp_lt_u32_e32 vcc, v4, v5
	s_waitcnt lgkmcnt(0)
	v_add_f32_e32 v2, v3, v2
	v_cndmask_b32_e32 v2, v3, v2, vcc
	v_cmp_eq_u32_e32 vcc, 0, v1
	s_and_saveexec_b64 s[0:1], vcc
	s_cbranch_execz .LBB29_14
; %bb.13:
	v_lshrrev_b32_e32 v3, 4, v0
	v_and_b32_e32 v3, 60, v3
	ds_write_b32 v3, v2
.LBB29_14:
	s_or_b64 exec, exec, s[0:1]
	v_cmp_gt_u32_e32 vcc, 16, v0
	s_waitcnt lgkmcnt(0)
	s_barrier
	s_and_saveexec_b64 s[2:3], vcc
	s_cbranch_execz .LBB29_16
; %bb.15:
	v_lshlrev_b32_e32 v2, 2, v1
	ds_read_b32 v2, v2
	v_and_b32_e32 v3, 15, v1
	v_cmp_ne_u32_e32 vcc, 15, v3
	v_addc_co_u32_e32 v4, vcc, 0, v1, vcc
	v_lshlrev_b32_e32 v4, 2, v4
	s_waitcnt lgkmcnt(0)
	ds_bpermute_b32 v4, v4, v2
	s_add_i32 s0, s20, 63
	s_lshr_b32 s8, s0, 6
	v_add_u32_e32 v5, 1, v3
	v_cmp_gt_u32_e64 s[0:1], 14, v3
	v_cmp_gt_u32_e32 vcc, s8, v5
	v_cndmask_b32_e64 v5, 0, 1, s[0:1]
	s_waitcnt lgkmcnt(0)
	v_add_f32_e32 v4, v2, v4
	v_lshlrev_b32_e32 v5, 1, v5
	v_cndmask_b32_e32 v4, v2, v4, vcc
	v_add_lshl_u32 v5, v5, v1, 2
	ds_bpermute_b32 v5, v5, v4
	v_add_u32_e32 v6, 2, v3
	v_cmp_gt_u32_e64 s[0:1], s8, v6
	v_add_u32_e32 v6, 4, v3
	s_waitcnt lgkmcnt(0)
	v_add_f32_e32 v5, v4, v5
	v_cndmask_b32_e64 v4, v4, v5, s[0:1]
	v_cmp_gt_u32_e64 s[0:1], 12, v3
	v_cndmask_b32_e64 v5, 0, 1, s[0:1]
	v_lshlrev_b32_e32 v5, 2, v5
	v_add_lshl_u32 v5, v5, v1, 2
	ds_bpermute_b32 v5, v5, v4
	v_cmp_gt_u32_e64 s[0:1], s8, v6
	s_waitcnt lgkmcnt(0)
	v_add_f32_e32 v5, v4, v5
	v_cndmask_b32_e64 v4, v4, v5, s[0:1]
	v_cmp_gt_u32_e64 s[0:1], 8, v3
	v_cndmask_b32_e64 v5, 0, 1, s[0:1]
	v_lshlrev_b32_e32 v5, 3, v5
	v_add_lshl_u32 v1, v5, v1, 2
	ds_bpermute_b32 v1, v1, v4
	v_add_u32_e32 v3, 8, v3
	v_cmp_gt_u32_e64 s[0:1], s8, v3
	s_waitcnt lgkmcnt(0)
	v_add_f32_e32 v1, v4, v1
	v_cndmask_b32_e64 v1, v4, v1, s[0:1]
	v_cndmask_b32_e32 v2, v2, v1, vcc
.LBB29_16:
	s_or_b64 exec, exec, s[2:3]
	v_cmp_eq_u32_e32 vcc, 0, v0
	s_and_saveexec_b64 s[0:1], vcc
	s_cbranch_execz .LBB29_18
; %bb.17:
	v_cvt_f32_i32_e32 v1, s18
	s_load_dword s8, s[4:5], 0x28
	v_div_scale_f32 v3, s[2:3], v1, v1, v2
	v_rcp_f32_e32 v4, v3
	v_div_scale_f32 v5, vcc, v2, v1, v2
	s_mov_b32 s2, 0x800000
	v_fma_f32 v6, -v3, v4, 1.0
	v_fmac_f32_e32 v4, v6, v4
	v_mul_f32_e32 v6, v5, v4
	v_fma_f32 v7, -v3, v6, v5
	v_fmac_f32_e32 v6, v7, v4
	v_fma_f32 v3, -v3, v6, v5
	v_div_fmas_f32 v3, v3, v4, v6
	v_div_fixup_f32 v1, v3, v1, v2
	s_waitcnt lgkmcnt(0)
	v_add_f32_e32 v1, s8, v1
	v_mul_f32_e32 v2, 0x4b800000, v1
	v_cmp_gt_f32_e32 vcc, s2, v1
	v_cndmask_b32_e32 v1, v1, v2, vcc
	v_rsq_f32_e32 v1, v1
	v_mul_f32_e32 v2, 0x45800000, v1
	v_cndmask_b32_e32 v1, v1, v2, vcc
	v_mov_b32_e32 v2, 0
	ds_write_b32 v2, v1 offset:64
.LBB29_18:
	s_or_b64 exec, exec, s[0:1]
	v_cmp_gt_i32_e32 vcc, s18, v0
	s_waitcnt lgkmcnt(0)
	s_barrier
	s_and_saveexec_b64 s[0:1], vcc
	s_cbranch_execz .LBB29_31
; %bb.19:
	s_load_dwordx4 s[8:11], s[4:5], 0x18
	s_load_dwordx2 s[2:3], s[4:5], 0x0
	s_mul_i32 s21, s6, s18
	v_mov_b32_e32 v3, 0
	ds_read_b32 v7, v3 offset:64
	s_waitcnt lgkmcnt(0)
	s_load_dword s6, s[10:11], 0x0
	s_mov_b64 s[4:5], 0
	v_mov_b32_e32 v6, s7
	v_mov_b32_e32 v8, s9
	s_movk_i32 s9, 0x7fff
	s_waitcnt lgkmcnt(0)
	v_div_scale_f32 v1, s[0:1], s6, s6, 1.0
	v_rcp_f32_e32 v2, v1
	v_div_scale_f32 v4, vcc, 1.0, s6, 1.0
	v_mov_b32_e32 v10, 0x7fc00000
	v_fma_f32 v5, -v1, v2, 1.0
	v_fmac_f32_e32 v2, v5, v2
	v_mul_f32_e32 v5, v4, v2
	v_fma_f32 v9, -v1, v5, v4
	v_fmac_f32_e32 v5, v9, v2
	v_fma_f32 v1, -v1, v5, v4
	v_div_fmas_f32 v1, v1, v2, v5
	v_div_fixup_f32 v9, v1, s6, 1.0
	s_movk_i32 s22, 0x7f
	s_mov_b64 s[6:7], 0x7f800000
	s_mov_b64 s[10:11], 0x43700001
	s_movk_i32 s23, 0x78
	s_movk_i32 s24, 0x80
	v_mov_b32_e32 v11, 0x77
	v_mov_b32_e32 v12, 0xffffff8a
	s_branch .LBB29_24
.LBB29_20:                              ;   in Loop: Header=BB29_24 Depth=1
	s_or_b64 exec, exec, s[0:1]
	v_lshrrev_b64 v[4:5], 20, v[4:5]
	v_cmp_gt_i32_e32 vcc, 16, v2
	v_and_b32_sdwa v1, v1, s24 dst_sel:DWORD dst_unused:UNUSED_PAD src0_sel:BYTE_3 src1_sel:DWORD
	v_min_i32_e32 v13, 15, v2
	v_cndmask_b32_e32 v5, 0, v5, vcc
	v_cndmask_b32_e32 v4, 7, v4, vcc
	v_cmp_eq_u32_e32 vcc, 0, v2
	v_cmp_eq_u64_e64 s[0:1], 0, v[4:5]
	v_lshl_or_b32 v1, v13, 3, v1
	v_and_or_b32 v1, v4, 7, v1
	s_and_b64 s[0:1], vcc, s[0:1]
	v_cndmask_b32_e64 v4, v1, 0, s[0:1]
.LBB29_21:                              ;   in Loop: Header=BB29_24 Depth=1
	s_or_b64 exec, exec, s[16:17]
.LBB29_22:                              ;   in Loop: Header=BB29_24 Depth=1
	s_andn2_saveexec_b64 s[0:1], s[14:15]
	s_or_b64 exec, exec, s[0:1]
.LBB29_23:                              ;   in Loop: Header=BB29_24 Depth=1
	s_andn2_saveexec_b64 s[0:1], s[12:13]
	s_or_b64 exec, exec, s[0:1]
	v_add_u32_e32 v1, s21, v0
	v_add_u32_e32 v0, s20, v0
	v_cmp_le_i32_e32 vcc, s18, v0
	s_or_b64 s[4:5], vcc, s[4:5]
	global_store_byte v1, v4, s[2:3]
	s_andn2_b64 exec, exec, s[4:5]
	s_cbranch_execz .LBB29_31
.LBB29_24:                              ; =>This Inner Loop Header: Depth=1
	v_ashrrev_i32_e32 v1, 31, v0
	v_lshlrev_b64 v[4:5], 1, v[0:1]
	v_add_co_u32_e32 v14, vcc, s19, v4
	v_addc_co_u32_e32 v15, vcc, v6, v5, vcc
	v_add_co_u32_e32 v4, vcc, s8, v4
	v_addc_co_u32_e32 v5, vcc, v8, v5, vcc
	global_load_ushort v1, v[14:15], off
	global_load_ushort v2, v[4:5], off
	s_waitcnt vmcnt(1)
	v_lshlrev_b32_e32 v1, 16, v1
	v_mul_f32_e32 v1, v7, v1
	v_bfe_u32 v4, v1, 16, 1
	v_add3_u32 v4, v1, v4, s9
	v_and_b32_e32 v4, 0xffff0000, v4
	v_cmp_o_f32_e32 vcc, v1, v1
	s_waitcnt vmcnt(0)
	v_lshlrev_b32_e32 v2, 16, v2
	v_cndmask_b32_e32 v1, v10, v4, vcc
	v_mul_f32_e32 v1, v1, v2
	v_bfe_u32 v2, v1, 16, 1
	v_add3_u32 v2, v1, v2, s9
	v_and_b32_e32 v2, 0xffff0000, v2
	v_cmp_o_f32_e32 vcc, v1, v1
	v_cndmask_b32_e32 v1, v10, v2, vcc
	v_mul_f32_e32 v1, v9, v1
	v_min_f32_e32 v1, 0x43600000, v1
	v_max_f32_e32 v1, 0xc3600000, v1
	v_and_b32_e32 v2, 0x7f800000, v1
	v_or_b32_sdwa v4, v1, s22 dst_sel:DWORD dst_unused:UNUSED_PAD src0_sel:BYTE_3 src1_sel:DWORD
	v_cmp_ne_u64_e32 vcc, s[6:7], v[2:3]
	s_and_saveexec_b64 s[0:1], vcc
	s_xor_b64 s[12:13], exec, s[0:1]
	s_cbranch_execz .LBB29_23
; %bb.25:                               ;   in Loop: Header=BB29_24 Depth=1
	v_and_b32_e32 v2, 0x7fffffff, v1
	v_cmp_gt_u64_e32 vcc, s[10:11], v[2:3]
	s_and_saveexec_b64 s[0:1], vcc
	s_xor_b64 s[14:15], exec, s[0:1]
	s_cbranch_execz .LBB29_22
; %bb.26:                               ;   in Loop: Header=BB29_24 Depth=1
	v_cmp_ne_u32_e32 vcc, 0, v1
	v_mov_b32_e32 v4, 0
	s_and_saveexec_b64 s[16:17], vcc
	s_cbranch_execz .LBB29_21
; %bb.27:                               ;   in Loop: Header=BB29_24 Depth=1
	v_bfe_u32 v4, v1, 23, 8
	v_sub_u32_e64 v5, s23, v4 clamp
	v_cmp_eq_u32_e32 vcc, 0, v4
	v_cndmask_b32_e32 v17, v5, v11, vcc
	v_and_b32_e32 v2, 0x7fffff, v1
	v_add_u32_e32 v16, 0xffffff89, v4
	v_add_u32_e32 v4, 20, v17
	v_or_b32_e32 v13, 0x800000, v2
	v_lshlrev_b64 v[4:5], v4, -1
	v_cndmask_b32_e32 v2, v13, v2, vcc
	v_not_b32_e32 v4, v4
	v_add_u32_e32 v13, 19, v17
	v_and_b32_e32 v4, v2, v4
	v_mov_b32_e32 v5, v3
	v_lshlrev_b64 v[14:15], v13, 1
	v_cmp_eq_u64_e64 s[0:1], v[4:5], v[14:15]
	v_lshrrev_b64 v[4:5], v17, v[2:3]
	v_cndmask_b32_e32 v2, v16, v12, vcc
	v_lshrrev_b32_e32 v13, 23, v4
	v_add3_u32 v13, v2, v17, v13
	v_and_b32_e32 v2, 0x100000, v4
	v_cmp_eq_u64_e32 vcc, 0, v[2:3]
	s_and_b64 vcc, vcc, s[0:1]
	v_subbrev_co_u32_e32 v2, vcc, 0, v4, vcc
	v_and_b32_e32 v2, 0xfffff, v2
	v_add_co_u32_e32 v4, vcc, v2, v4
	v_add_u32_e32 v14, -1, v13
	v_addc_co_u32_e32 v5, vcc, 0, v5, vcc
	v_cmp_ne_u32_e32 vcc, 0, v14
                                        ; implicit-def: $vgpr2
	s_and_saveexec_b64 s[0:1], vcc
	s_xor_b64 s[0:1], exec, s[0:1]
; %bb.28:                               ;   in Loop: Header=BB29_24 Depth=1
	v_and_b32_e32 v2, 0x1000000, v4
	v_cmp_eq_u64_e32 vcc, 0, v[2:3]
	v_cndmask_b32_e32 v2, v13, v14, vcc
	v_bfe_u32 v13, v4, 24, 1
	v_lshrrev_b64 v[4:5], v13, v[4:5]
; %bb.29:                               ;   in Loop: Header=BB29_24 Depth=1
	s_andn2_saveexec_b64 s[0:1], s[0:1]
	s_cbranch_execz .LBB29_20
; %bb.30:                               ;   in Loop: Header=BB29_24 Depth=1
	v_bfe_u32 v2, v4, 23, 1
	s_branch .LBB29_20
.LBB29_31:
	s_endpgm
	.section	.rodata,"a",@progbits
	.p2align	6, 0x0
	.amdhsa_kernel _ZN4vllm32rms_norm_static_fp8_quant_kernelIN3c108BFloat16ENS1_15Float8_e4m3fnuzELi1EEEvPT0_PKT_iS8_PKffii
		.amdhsa_group_segment_fixed_size 68
		.amdhsa_private_segment_fixed_size 0
		.amdhsa_kernarg_size 312
		.amdhsa_user_sgpr_count 6
		.amdhsa_user_sgpr_private_segment_buffer 1
		.amdhsa_user_sgpr_dispatch_ptr 0
		.amdhsa_user_sgpr_queue_ptr 0
		.amdhsa_user_sgpr_kernarg_segment_ptr 1
		.amdhsa_user_sgpr_dispatch_id 0
		.amdhsa_user_sgpr_flat_scratch_init 0
		.amdhsa_user_sgpr_kernarg_preload_length 0
		.amdhsa_user_sgpr_kernarg_preload_offset 0
		.amdhsa_user_sgpr_private_segment_size 0
		.amdhsa_uses_dynamic_stack 0
		.amdhsa_system_sgpr_private_segment_wavefront_offset 0
		.amdhsa_system_sgpr_workgroup_id_x 1
		.amdhsa_system_sgpr_workgroup_id_y 0
		.amdhsa_system_sgpr_workgroup_id_z 0
		.amdhsa_system_sgpr_workgroup_info 0
		.amdhsa_system_vgpr_workitem_id 0
		.amdhsa_next_free_vgpr 18
		.amdhsa_next_free_sgpr 25
		.amdhsa_accum_offset 20
		.amdhsa_reserve_vcc 1
		.amdhsa_reserve_flat_scratch 0
		.amdhsa_float_round_mode_32 0
		.amdhsa_float_round_mode_16_64 0
		.amdhsa_float_denorm_mode_32 3
		.amdhsa_float_denorm_mode_16_64 3
		.amdhsa_dx10_clamp 1
		.amdhsa_ieee_mode 1
		.amdhsa_fp16_overflow 0
		.amdhsa_tg_split 0
		.amdhsa_exception_fp_ieee_invalid_op 0
		.amdhsa_exception_fp_denorm_src 0
		.amdhsa_exception_fp_ieee_div_zero 0
		.amdhsa_exception_fp_ieee_overflow 0
		.amdhsa_exception_fp_ieee_underflow 0
		.amdhsa_exception_fp_ieee_inexact 0
		.amdhsa_exception_int_div_zero 0
	.end_amdhsa_kernel
	.section	.text._ZN4vllm32rms_norm_static_fp8_quant_kernelIN3c108BFloat16ENS1_15Float8_e4m3fnuzELi1EEEvPT0_PKT_iS8_PKffii,"axG",@progbits,_ZN4vllm32rms_norm_static_fp8_quant_kernelIN3c108BFloat16ENS1_15Float8_e4m3fnuzELi1EEEvPT0_PKT_iS8_PKffii,comdat
.Lfunc_end29:
	.size	_ZN4vllm32rms_norm_static_fp8_quant_kernelIN3c108BFloat16ENS1_15Float8_e4m3fnuzELi1EEEvPT0_PKT_iS8_PKffii, .Lfunc_end29-_ZN4vllm32rms_norm_static_fp8_quant_kernelIN3c108BFloat16ENS1_15Float8_e4m3fnuzELi1EEEvPT0_PKT_iS8_PKffii
                                        ; -- End function
	.section	.AMDGPU.csdata,"",@progbits
; Kernel info:
; codeLenInByte = 1972
; NumSgprs: 29
; NumVgprs: 18
; NumAgprs: 0
; TotalNumVgprs: 18
; ScratchSize: 0
; MemoryBound: 0
; FloatMode: 240
; IeeeMode: 1
; LDSByteSize: 68 bytes/workgroup (compile time only)
; SGPRBlocks: 3
; VGPRBlocks: 2
; NumSGPRsForWavesPerEU: 29
; NumVGPRsForWavesPerEU: 18
; AccumOffset: 20
; Occupancy: 8
; WaveLimiterHint : 0
; COMPUTE_PGM_RSRC2:SCRATCH_EN: 0
; COMPUTE_PGM_RSRC2:USER_SGPR: 6
; COMPUTE_PGM_RSRC2:TRAP_HANDLER: 0
; COMPUTE_PGM_RSRC2:TGID_X_EN: 1
; COMPUTE_PGM_RSRC2:TGID_Y_EN: 0
; COMPUTE_PGM_RSRC2:TGID_Z_EN: 0
; COMPUTE_PGM_RSRC2:TIDIG_COMP_CNT: 0
; COMPUTE_PGM_RSRC3_GFX90A:ACCUM_OFFSET: 4
; COMPUTE_PGM_RSRC3_GFX90A:TG_SPLIT: 0
	.section	.text._ZN4vllm42fused_add_rms_norm_static_fp8_quant_kernelIfLi8EN3c1013Float8_e4m3fnEEENSt9enable_ifIXaagtT0_Li0Esr12_typeConvertIT_EE6existsEvE4typeEPT1_PS4_iS9_PKS4_PKffii,"axG",@progbits,_ZN4vllm42fused_add_rms_norm_static_fp8_quant_kernelIfLi8EN3c1013Float8_e4m3fnEEENSt9enable_ifIXaagtT0_Li0Esr12_typeConvertIT_EE6existsEvE4typeEPT1_PS4_iS9_PKS4_PKffii,comdat
	.protected	_ZN4vllm42fused_add_rms_norm_static_fp8_quant_kernelIfLi8EN3c1013Float8_e4m3fnEEENSt9enable_ifIXaagtT0_Li0Esr12_typeConvertIT_EE6existsEvE4typeEPT1_PS4_iS9_PKS4_PKffii ; -- Begin function _ZN4vllm42fused_add_rms_norm_static_fp8_quant_kernelIfLi8EN3c1013Float8_e4m3fnEEENSt9enable_ifIXaagtT0_Li0Esr12_typeConvertIT_EE6existsEvE4typeEPT1_PS4_iS9_PKS4_PKffii
	.globl	_ZN4vllm42fused_add_rms_norm_static_fp8_quant_kernelIfLi8EN3c1013Float8_e4m3fnEEENSt9enable_ifIXaagtT0_Li0Esr12_typeConvertIT_EE6existsEvE4typeEPT1_PS4_iS9_PKS4_PKffii
	.p2align	8
	.type	_ZN4vllm42fused_add_rms_norm_static_fp8_quant_kernelIfLi8EN3c1013Float8_e4m3fnEEENSt9enable_ifIXaagtT0_Li0Esr12_typeConvertIT_EE6existsEvE4typeEPT1_PS4_iS9_PKS4_PKffii,@function
_ZN4vllm42fused_add_rms_norm_static_fp8_quant_kernelIfLi8EN3c1013Float8_e4m3fnEEENSt9enable_ifIXaagtT0_Li0Esr12_typeConvertIT_EE6existsEvE4typeEPT1_PS4_iS9_PKS4_PKffii: ; @_ZN4vllm42fused_add_rms_norm_static_fp8_quant_kernelIfLi8EN3c1013Float8_e4m3fnEEENSt9enable_ifIXaagtT0_Li0Esr12_typeConvertIT_EE6existsEvE4typeEPT1_PS4_iS9_PKS4_PKffii
; %bb.0:
	s_load_dword s22, s[4:5], 0x38
	s_load_dwordx2 s[12:13], s[4:5], 0x18
                                        ; implicit-def: $sgpr16
                                        ; implicit-def: $sgpr7
	s_waitcnt lgkmcnt(0)
	s_ashr_i32 s0, s22, 31
	s_lshr_b32 s0, s0, 29
	s_add_i32 s0, s22, s0
	s_ashr_i32 s20, s0, 3
	v_cmp_gt_i32_e64 s[0:1], s20, v0
	v_cmp_le_i32_e32 vcc, s20, v0
	s_and_saveexec_b64 s[2:3], vcc
	s_xor_b64 s[2:3], exec, s[2:3]
	s_cbranch_execz .LBB30_2
; %bb.1:
	s_load_dword s7, s[4:5], 0x4c
	s_mov_b32 s16, 0
	s_waitcnt lgkmcnt(0)
	s_and_b32 s7, s7, 0xffff
.LBB30_2:
	s_or_saveexec_b64 s[2:3], s[2:3]
	s_load_dwordx2 s[14:15], s[4:5], 0x0
	s_load_dwordx4 s[8:11], s[4:5], 0x20
	v_mov_b32_e32 v1, s16
	v_mov_b32_e32 v18, s7
	s_mul_i32 s21, s20, s6
	s_xor_b64 exec, exec, s[2:3]
	s_cbranch_execz .LBB30_6
; %bb.3:
	s_load_dword s23, s[4:5], 0x10
	s_load_dword s7, s[4:5], 0x4c
	s_load_dwordx2 s[16:17], s[4:5], 0x8
	s_mov_b64 s[18:19], 0
	v_mov_b32_e32 v1, 0
	s_waitcnt lgkmcnt(0)
	s_ashr_i32 s24, s23, 31
	s_lshr_b32 s24, s24, 29
	s_add_i32 s23, s23, s24
	s_ashr_i32 s23, s23, 3
	s_and_b32 s7, s7, 0xffff
	s_mul_i32 s6, s23, s6
	v_mov_b32_e32 v2, s17
	v_mov_b32_e32 v3, s13
	;; [unrolled: 1-line block ×3, first 2 shown]
.LBB30_4:                               ; =>This Inner Loop Header: Depth=1
	v_add_u32_e32 v6, s6, v4
	v_ashrrev_i32_e32 v7, 31, v6
	v_add_u32_e32 v8, s21, v4
	v_lshlrev_b64 v[6:7], 5, v[6:7]
	v_ashrrev_i32_e32 v9, 31, v8
	v_add_co_u32_e32 v22, vcc, s16, v6
	v_lshlrev_b64 v[8:9], 5, v[8:9]
	v_addc_co_u32_e32 v23, vcc, v2, v7, vcc
	v_add_co_u32_e32 v24, vcc, s12, v8
	v_addc_co_u32_e32 v25, vcc, v3, v9, vcc
	global_load_dwordx4 v[6:9], v[22:23], off
	global_load_dwordx4 v[10:13], v[24:25], off
	global_load_dwordx4 v[14:17], v[22:23], off offset:16
	global_load_dwordx4 v[18:21], v[24:25], off offset:16
	v_add_u32_e32 v4, s7, v4
	v_cmp_le_i32_e32 vcc, s20, v4
	s_or_b64 s[18:19], vcc, s[18:19]
	s_waitcnt vmcnt(3)
	v_mov_b32_e32 v23, v8
	s_waitcnt vmcnt(2)
	v_mov_b32_e32 v27, v12
	v_mov_b32_e32 v8, v7
	;; [unrolled: 1-line block ×5, first 2 shown]
	s_waitcnt vmcnt(1)
	v_mov_b32_e32 v7, v16
	s_waitcnt vmcnt(0)
	v_mov_b32_e32 v11, v20
	v_mov_b32_e32 v16, v15
	;; [unrolled: 1-line block ×3, first 2 shown]
	v_pk_add_f32 v[8:9], v[8:9], v[12:13]
	v_mov_b32_e32 v6, v14
	v_mov_b32_e32 v10, v18
	v_pk_add_f32 v[14:15], v[22:23], v[26:27]
	v_pk_add_f32 v[12:13], v[16:17], v[20:21]
	v_pk_mul_f32 v[16:17], v[8:9], v[8:9]
	v_pk_add_f32 v[18:19], v[6:7], v[10:11]
	v_pk_mul_f32 v[20:21], v[12:13], v[12:13]
	v_mov_b32_e32 v6, v14
	v_mov_b32_e32 v7, v8
	;; [unrolled: 1-line block ×3, first 2 shown]
	v_pk_fma_f32 v[14:15], v[14:15], v[14:15], v[16:17]
	v_pk_fma_f32 v[16:17], v[18:19], v[18:19], v[20:21]
	v_add_f32_e32 v5, v14, v15
	v_add_f32_e32 v5, v5, v16
	;; [unrolled: 1-line block ×4, first 2 shown]
	v_mov_b32_e32 v10, v18
	v_mov_b32_e32 v11, v12
	;; [unrolled: 1-line block ×3, first 2 shown]
	global_store_dwordx4 v[24:25], v[6:9], off
	global_store_dwordx4 v[24:25], v[10:13], off offset:16
	s_andn2_b64 exec, exec, s[18:19]
	s_cbranch_execnz .LBB30_4
; %bb.5:
	s_or_b64 exec, exec, s[18:19]
	v_mov_b32_e32 v18, s7
.LBB30_6:
	s_or_b64 exec, exec, s[2:3]
	v_mbcnt_lo_u32_b32 v2, -1, 0
	v_mbcnt_hi_u32_b32 v2, -1, v2
	v_and_b32_e32 v3, 63, v2
	v_cmp_ne_u32_e32 vcc, 63, v3
	v_addc_co_u32_e32 v4, vcc, 0, v2, vcc
	v_lshlrev_b32_e32 v4, 2, v4
	ds_bpermute_b32 v4, v4, v1
	v_and_b32_e32 v5, 0x3c0, v0
	v_sub_u32_e64 v5, v18, v5 clamp
	v_add_u32_e32 v6, 1, v2
	v_cmp_lt_u32_e32 vcc, v6, v5
	s_waitcnt lgkmcnt(0)
	v_add_f32_e32 v4, v1, v4
	v_cndmask_b32_e32 v1, v1, v4, vcc
	v_cmp_gt_u32_e32 vcc, 62, v3
	v_cndmask_b32_e64 v4, 0, 1, vcc
	v_lshlrev_b32_e32 v4, 1, v4
	v_add_lshl_u32 v4, v4, v2, 2
	ds_bpermute_b32 v4, v4, v1
	v_add_u32_e32 v6, 2, v2
	v_cmp_lt_u32_e32 vcc, v6, v5
	v_add_u32_e32 v6, 4, v2
	s_waitcnt lgkmcnt(0)
	v_add_f32_e32 v4, v1, v4
	v_cndmask_b32_e32 v1, v1, v4, vcc
	v_cmp_gt_u32_e32 vcc, 60, v3
	v_cndmask_b32_e64 v4, 0, 1, vcc
	v_lshlrev_b32_e32 v4, 2, v4
	v_add_lshl_u32 v4, v4, v2, 2
	ds_bpermute_b32 v4, v4, v1
	v_cmp_lt_u32_e32 vcc, v6, v5
	v_add_u32_e32 v6, 8, v2
	s_waitcnt lgkmcnt(0)
	v_add_f32_e32 v4, v1, v4
	v_cndmask_b32_e32 v1, v1, v4, vcc
	v_cmp_gt_u32_e32 vcc, 56, v3
	v_cndmask_b32_e64 v4, 0, 1, vcc
	v_lshlrev_b32_e32 v4, 3, v4
	v_add_lshl_u32 v4, v4, v2, 2
	ds_bpermute_b32 v4, v4, v1
	;; [unrolled: 10-line block ×3, first 2 shown]
	v_cmp_lt_u32_e32 vcc, v6, v5
	s_waitcnt lgkmcnt(0)
	v_add_f32_e32 v4, v1, v4
	v_cndmask_b32_e32 v1, v1, v4, vcc
	v_cmp_gt_u32_e32 vcc, 32, v3
	v_cndmask_b32_e64 v3, 0, 1, vcc
	v_lshlrev_b32_e32 v3, 5, v3
	v_add_lshl_u32 v3, v3, v2, 2
	ds_bpermute_b32 v3, v3, v1
	v_add_u32_e32 v4, 32, v2
	v_cmp_lt_u32_e32 vcc, v4, v5
	s_waitcnt lgkmcnt(0)
	v_add_f32_e32 v3, v1, v3
	v_cndmask_b32_e32 v1, v1, v3, vcc
	v_cmp_eq_u32_e32 vcc, 0, v2
	s_and_saveexec_b64 s[2:3], vcc
	s_cbranch_execz .LBB30_8
; %bb.7:
	v_lshrrev_b32_e32 v3, 4, v0
	v_and_b32_e32 v3, 60, v3
	ds_write_b32 v3, v1
.LBB30_8:
	s_or_b64 exec, exec, s[2:3]
	v_cmp_gt_u32_e32 vcc, 16, v0
	s_waitcnt lgkmcnt(0)
	s_barrier
	s_and_saveexec_b64 s[6:7], vcc
	s_cbranch_execz .LBB30_10
; %bb.9:
	v_lshlrev_b32_e32 v1, 2, v2
	ds_read_b32 v1, v1
	v_and_b32_e32 v3, 15, v2
	v_cmp_ne_u32_e32 vcc, 15, v3
	v_addc_co_u32_e32 v4, vcc, 0, v2, vcc
	v_lshlrev_b32_e32 v4, 2, v4
	s_waitcnt lgkmcnt(0)
	ds_bpermute_b32 v4, v4, v1
	v_add_u32_e32 v5, 63, v18
	v_lshrrev_b32_e32 v5, 6, v5
	v_add_u32_e32 v6, 1, v3
	v_cmp_gt_u32_e64 s[2:3], 14, v3
	v_cmp_lt_u32_e32 vcc, v6, v5
	v_cndmask_b32_e64 v6, 0, 1, s[2:3]
	s_waitcnt lgkmcnt(0)
	v_add_f32_e32 v4, v1, v4
	v_lshlrev_b32_e32 v6, 1, v6
	v_cndmask_b32_e32 v4, v1, v4, vcc
	v_add_lshl_u32 v6, v6, v2, 2
	ds_bpermute_b32 v6, v6, v4
	v_add_u32_e32 v7, 2, v3
	v_cmp_lt_u32_e64 s[2:3], v7, v5
	v_add_u32_e32 v7, 4, v3
	s_waitcnt lgkmcnt(0)
	v_add_f32_e32 v6, v4, v6
	v_cndmask_b32_e64 v4, v4, v6, s[2:3]
	v_cmp_gt_u32_e64 s[2:3], 12, v3
	v_cndmask_b32_e64 v6, 0, 1, s[2:3]
	v_lshlrev_b32_e32 v6, 2, v6
	v_add_lshl_u32 v6, v6, v2, 2
	ds_bpermute_b32 v6, v6, v4
	v_cmp_lt_u32_e64 s[2:3], v7, v5
	s_waitcnt lgkmcnt(0)
	v_add_f32_e32 v6, v4, v6
	v_cndmask_b32_e64 v4, v4, v6, s[2:3]
	v_cmp_gt_u32_e64 s[2:3], 8, v3
	v_cndmask_b32_e64 v6, 0, 1, s[2:3]
	v_lshlrev_b32_e32 v6, 3, v6
	v_add_lshl_u32 v2, v6, v2, 2
	ds_bpermute_b32 v2, v2, v4
	v_add_u32_e32 v3, 8, v3
	v_cmp_lt_u32_e64 s[2:3], v3, v5
	s_waitcnt lgkmcnt(0)
	v_add_f32_e32 v2, v4, v2
	v_cndmask_b32_e64 v2, v4, v2, s[2:3]
	v_cndmask_b32_e32 v1, v1, v2, vcc
.LBB30_10:
	s_or_b64 exec, exec, s[6:7]
	v_cmp_eq_u32_e32 vcc, 0, v0
	s_and_saveexec_b64 s[2:3], vcc
	s_cbranch_execz .LBB30_12
; %bb.11:
	v_cvt_f32_i32_e32 v2, s22
	s_load_dword s6, s[4:5], 0x30
	v_div_scale_f32 v3, s[4:5], v2, v2, v1
	v_rcp_f32_e32 v4, v3
	v_div_scale_f32 v5, vcc, v1, v2, v1
	s_mov_b32 s4, 0x800000
	v_fma_f32 v6, -v3, v4, 1.0
	v_fmac_f32_e32 v4, v6, v4
	v_mul_f32_e32 v6, v5, v4
	v_fma_f32 v7, -v3, v6, v5
	v_fmac_f32_e32 v6, v7, v4
	v_fma_f32 v3, -v3, v6, v5
	v_div_fmas_f32 v3, v3, v4, v6
	v_div_fixup_f32 v1, v3, v2, v1
	s_waitcnt lgkmcnt(0)
	v_add_f32_e32 v1, s6, v1
	v_mul_f32_e32 v2, 0x4b800000, v1
	v_cmp_gt_f32_e32 vcc, s4, v1
	v_cndmask_b32_e32 v1, v1, v2, vcc
	v_rsq_f32_e32 v1, v1
	v_mul_f32_e32 v2, 0x45800000, v1
	v_cndmask_b32_e32 v1, v1, v2, vcc
	v_mov_b32_e32 v2, 0
	ds_write_b32 v2, v1 offset:64
.LBB30_12:
	s_or_b64 exec, exec, s[2:3]
	s_waitcnt lgkmcnt(0)
	s_barrier
	s_and_saveexec_b64 s[2:3], s[0:1]
	s_cbranch_execz .LBB30_143
; %bb.13:
	s_load_dword s2, s[10:11], 0x0
	v_mov_b32_e32 v21, 0
	ds_read_b32 v28, v21 offset:64
	v_mov_b32_e32 v19, v21
	v_add_lshl_u32 v1, v0, s21, 3
	s_waitcnt lgkmcnt(0)
	v_div_scale_f32 v2, s[0:1], s2, s2, 1.0
	v_rcp_f32_e32 v3, v2
	v_div_scale_f32 v4, vcc, 1.0, s2, 1.0
	v_lshlrev_b32_e32 v30, 3, v18
	v_fma_f32 v5, -v2, v3, 1.0
	v_fmac_f32_e32 v3, v5, v3
	v_mul_f32_e32 v5, v4, v3
	v_fma_f32 v6, -v2, v5, v4
	v_fmac_f32_e32 v5, v6, v3
	v_fma_f32 v2, -v2, v5, v4
	v_div_fmas_f32 v2, v2, v3, v5
	v_div_fixup_f32 v29, v2, s2, 1.0
	v_lshlrev_b32_e32 v2, 5, v0
	v_mov_b32_e32 v3, s9
	v_add_co_u32_e32 v2, vcc, s8, v2
	v_addc_co_u32_e32 v3, vcc, 0, v3, vcc
	v_add_co_u32_e32 v22, vcc, 28, v2
	v_addc_co_u32_e32 v23, vcc, 0, v3, vcc
	v_lshlrev_b64 v[24:25], 5, v[18:19]
	s_mov_b64 s[2:3], 0
	v_mov_b32_e32 v19, s13
	s_movk_i32 s13, 0x80
	s_mov_b64 s[4:5], 0x7f800000
	s_mov_b64 s[6:7], 0x43e00001
	s_movk_i32 s18, 0x79
	s_movk_i32 s19, 0x7f
	v_mov_b32_e32 v31, 0x78
	v_mov_b32_e32 v32, 0xffffff89
	s_branch .LBB30_15
.LBB30_14:                              ;   in Loop: Header=BB30_15 Depth=1
	s_or_b64 exec, exec, s[0:1]
	v_add_u32_e32 v0, v0, v18
	v_cmp_le_i32_e32 vcc, s20, v0
	s_or_b64 s[2:3], vcc, s[2:3]
	v_add_co_u32_e32 v22, vcc, v22, v24
	v_add_u32_e32 v1, v1, v30
	v_addc_co_u32_e32 v23, vcc, v23, v25, vcc
	global_store_byte v[26:27], v3, off offset:7
	s_andn2_b64 exec, exec, s[2:3]
	s_cbranch_execz .LBB30_143
.LBB30_15:                              ; =>This Inner Loop Header: Depth=1
	v_add_u32_e32 v2, s21, v0
	v_ashrrev_i32_e32 v3, 31, v2
	v_lshlrev_b64 v[2:3], 5, v[2:3]
	v_add_co_u32_e32 v26, vcc, s12, v2
	v_addc_co_u32_e32 v27, vcc, v19, v3, vcc
	global_load_dwordx4 v[10:13], v[26:27], off
	global_load_dwordx4 v[14:17], v[22:23], off offset:-28
	global_load_dwordx4 v[2:5], v[26:27], off offset:16
	global_load_dwordx4 v[6:9], v[22:23], off offset:-12
	v_mov_b32_e32 v35, v21
	s_waitcnt vmcnt(3)
	v_mul_f32_e32 v10, v10, v28
	s_waitcnt vmcnt(2)
	v_mul_f32_e32 v10, v10, v14
	v_mul_f32_e32 v10, v29, v10
	v_min_f32_e32 v10, 0x43e00000, v10
	v_max_f32_e32 v26, 0xc3e00000, v10
	v_and_b32_sdwa v10, v26, s13 dst_sel:DWORD dst_unused:UNUSED_PAD src0_sel:BYTE_3 src1_sel:DWORD
	v_and_b32_e32 v34, 0x7f800000, v26
	v_and_b32_e32 v20, 0x7fffff, v26
	v_or_b32_e32 v14, 0x7e, v10
	v_cmp_ne_u64_e32 vcc, s[4:5], v[34:35]
	s_and_saveexec_b64 s[0:1], vcc
	s_xor_b64 s[8:9], exec, s[0:1]
	s_cbranch_execz .LBB30_29
; %bb.16:                               ;   in Loop: Header=BB30_15 Depth=1
	v_and_b32_e32 v34, 0x7fffffff, v26
	v_mov_b32_e32 v35, v21
	v_cmp_gt_u64_e32 vcc, s[6:7], v[34:35]
	s_and_saveexec_b64 s[0:1], vcc
	s_xor_b64 s[10:11], exec, s[0:1]
	s_cbranch_execz .LBB30_28
; %bb.17:                               ;   in Loop: Header=BB30_15 Depth=1
	v_cmp_ne_u32_e32 vcc, 0, v26
	v_mov_b32_e32 v14, 0
	s_and_saveexec_b64 s[16:17], vcc
	s_cbranch_execz .LBB30_27
; %bb.18:                               ;   in Loop: Header=BB30_15 Depth=1
	v_bfe_u32 v14, v26, 23, 8
	v_sub_u32_e64 v26, s18, v14 clamp
	v_cmp_eq_u32_e32 vcc, 0, v14
	v_add_u32_e32 v33, 0xffffff88, v14
	v_cndmask_b32_e32 v14, v26, v31, vcc
	v_or_b32_e32 v27, 0x800000, v20
	v_add_u32_e32 v26, 20, v14
	v_cndmask_b32_e32 v20, v27, v20, vcc
	v_lshlrev_b64 v[26:27], v26, -1
	v_not_b32_e32 v27, v27
	v_not_b32_e32 v26, v26
	v_add_u32_e32 v34, 19, v14
	v_and_b32_e32 v27, 0, v27
	v_and_b32_e32 v26, v20, v26
	v_lshlrev_b64 v[34:35], v34, 1
	v_cmp_eq_u64_e64 s[0:1], v[26:27], v[34:35]
	v_lshrrev_b64 v[26:27], v14, v[20:21]
	v_cndmask_b32_e32 v20, v33, v32, vcc
	v_lshrrev_b32_e32 v33, 23, v26
	v_add3_u32 v14, v20, v14, v33
	v_and_b32_e32 v20, 0x100000, v26
	v_cmp_eq_u64_e32 vcc, 0, v[20:21]
	s_and_b64 vcc, vcc, s[0:1]
	v_subbrev_co_u32_e32 v20, vcc, 0, v26, vcc
	v_and_b32_e32 v20, 0xfffff, v20
	v_add_co_u32_e32 v26, vcc, v20, v26
	v_add_u32_e32 v33, -1, v14
	v_addc_co_u32_e32 v27, vcc, 0, v27, vcc
	v_cmp_ne_u32_e32 vcc, 0, v33
                                        ; implicit-def: $vgpr20
	s_and_saveexec_b64 s[0:1], vcc
	s_xor_b64 s[0:1], exec, s[0:1]
; %bb.19:                               ;   in Loop: Header=BB30_15 Depth=1
	v_and_b32_e32 v20, 0x1000000, v26
	v_cmp_eq_u64_e32 vcc, 0, v[20:21]
	v_cndmask_b32_e32 v20, v14, v33, vcc
	v_bfe_u32 v14, v26, 24, 1
	v_lshrrev_b64 v[26:27], v14, v[26:27]
; %bb.20:                               ;   in Loop: Header=BB30_15 Depth=1
	s_andn2_saveexec_b64 s[0:1], s[0:1]
; %bb.21:                               ;   in Loop: Header=BB30_15 Depth=1
	v_bfe_u32 v20, v26, 23, 1
; %bb.22:                               ;   in Loop: Header=BB30_15 Depth=1
	s_or_b64 exec, exec, s[0:1]
	v_lshrrev_b64 v[26:27], 20, v[26:27]
	v_cmp_gt_i32_e32 vcc, 16, v20
	v_cndmask_b32_e32 v27, 0, v27, vcc
	v_cndmask_b32_e32 v26, 7, v26, vcc
	v_cmp_ne_u32_e32 vcc, 0, v20
	v_cmp_ne_u64_e64 s[0:1], 0, v[26:27]
	s_or_b64 s[0:1], vcc, s[0:1]
                                        ; implicit-def: $vgpr14
	s_and_saveexec_b64 s[22:23], s[0:1]
	s_xor_b64 s[0:1], exec, s[22:23]
; %bb.23:                               ;   in Loop: Header=BB30_15 Depth=1
	v_min_i32_e32 v14, 15, v20
	v_lshl_or_b32 v10, v14, 3, v10
	v_and_or_b32 v14, v26, 7, v10
                                        ; implicit-def: $vgpr10
; %bb.24:                               ;   in Loop: Header=BB30_15 Depth=1
	s_andn2_saveexec_b64 s[0:1], s[0:1]
; %bb.25:                               ;   in Loop: Header=BB30_15 Depth=1
	v_mov_b32_e32 v14, v10
; %bb.26:                               ;   in Loop: Header=BB30_15 Depth=1
	s_or_b64 exec, exec, s[0:1]
.LBB30_27:                              ;   in Loop: Header=BB30_15 Depth=1
	s_or_b64 exec, exec, s[16:17]
.LBB30_28:                              ;   in Loop: Header=BB30_15 Depth=1
	s_andn2_saveexec_b64 s[0:1], s[10:11]
	s_or_b64 exec, exec, s[0:1]
                                        ; implicit-def: $vgpr26
.LBB30_29:                              ;   in Loop: Header=BB30_15 Depth=1
	s_andn2_saveexec_b64 s[0:1], s[8:9]
; %bb.30:                               ;   in Loop: Header=BB30_15 Depth=1
	v_or_b32_sdwa v10, v26, s19 dst_sel:DWORD dst_unused:UNUSED_PAD src0_sel:BYTE_3 src1_sel:DWORD
	v_cmp_eq_u64_e32 vcc, 0, v[20:21]
	v_cndmask_b32_e32 v14, v10, v14, vcc
; %bb.31:                               ;   in Loop: Header=BB30_15 Depth=1
	s_or_b64 exec, exec, s[0:1]
	v_ashrrev_i32_e32 v10, 31, v1
	v_mov_b32_e32 v20, s15
	v_add_co_u32_e32 v26, vcc, s14, v1
	v_addc_co_u32_e32 v27, vcc, v20, v10, vcc
	v_mul_f32_e32 v10, v11, v28
	v_mul_f32_e32 v10, v10, v15
	;; [unrolled: 1-line block ×3, first 2 shown]
	v_min_f32_e32 v10, 0x43e00000, v10
	v_max_f32_e32 v10, 0xc3e00000, v10
	global_store_byte v[26:27], v14, off
	v_and_b32_sdwa v14, v10, s13 dst_sel:DWORD dst_unused:UNUSED_PAD src0_sel:BYTE_3 src1_sel:DWORD
	v_and_b32_e32 v34, 0x7f800000, v10
	v_mov_b32_e32 v35, v21
	v_and_b32_e32 v20, 0x7fffff, v10
	v_or_b32_e32 v11, 0x7e, v14
	v_cmp_ne_u64_e32 vcc, s[4:5], v[34:35]
	s_and_saveexec_b64 s[0:1], vcc
	s_xor_b64 s[8:9], exec, s[0:1]
	s_cbranch_execz .LBB30_45
; %bb.32:                               ;   in Loop: Header=BB30_15 Depth=1
	v_and_b32_e32 v34, 0x7fffffff, v10
	v_mov_b32_e32 v35, v21
	v_cmp_gt_u64_e32 vcc, s[6:7], v[34:35]
	s_and_saveexec_b64 s[0:1], vcc
	s_xor_b64 s[10:11], exec, s[0:1]
	s_cbranch_execz .LBB30_44
; %bb.33:                               ;   in Loop: Header=BB30_15 Depth=1
	v_cmp_ne_u32_e32 vcc, 0, v10
	v_mov_b32_e32 v11, 0
	s_and_saveexec_b64 s[16:17], vcc
	s_cbranch_execz .LBB30_43
; %bb.34:                               ;   in Loop: Header=BB30_15 Depth=1
	v_bfe_u32 v10, v10, 23, 8
	v_sub_u32_e64 v11, s18, v10 clamp
	v_cmp_eq_u32_e32 vcc, 0, v10
	v_cndmask_b32_e32 v36, v11, v31, vcc
	v_add_u32_e32 v33, 0xffffff88, v10
	v_add_u32_e32 v10, 20, v36
	v_or_b32_e32 v15, 0x800000, v20
	v_lshlrev_b64 v[10:11], v10, -1
	v_cndmask_b32_e32 v20, v15, v20, vcc
	v_not_b32_e32 v11, v11
	v_not_b32_e32 v10, v10
	v_add_u32_e32 v15, 19, v36
	v_and_b32_e32 v11, 0, v11
	v_and_b32_e32 v10, v20, v10
	v_lshlrev_b64 v[34:35], v15, 1
	v_cmp_eq_u64_e64 s[0:1], v[10:11], v[34:35]
	v_lshrrev_b64 v[10:11], v36, v[20:21]
	v_cndmask_b32_e32 v15, v33, v32, vcc
	v_lshrrev_b32_e32 v20, 23, v10
	v_add3_u32 v33, v15, v36, v20
	v_and_b32_e32 v20, 0x100000, v10
	v_cmp_eq_u64_e32 vcc, 0, v[20:21]
	s_and_b64 vcc, vcc, s[0:1]
	v_subbrev_co_u32_e32 v15, vcc, 0, v10, vcc
	v_and_b32_e32 v15, 0xfffff, v15
	v_add_co_u32_e32 v10, vcc, v15, v10
	v_add_u32_e32 v34, -1, v33
	v_addc_co_u32_e32 v11, vcc, 0, v11, vcc
	v_cmp_ne_u32_e32 vcc, 0, v34
                                        ; implicit-def: $vgpr15
	s_and_saveexec_b64 s[0:1], vcc
	s_xor_b64 s[0:1], exec, s[0:1]
; %bb.35:                               ;   in Loop: Header=BB30_15 Depth=1
	v_and_b32_e32 v20, 0x1000000, v10
	v_cmp_eq_u64_e32 vcc, 0, v[20:21]
	v_bfe_u32 v20, v10, 24, 1
	v_cndmask_b32_e32 v15, v33, v34, vcc
	v_lshrrev_b64 v[10:11], v20, v[10:11]
; %bb.36:                               ;   in Loop: Header=BB30_15 Depth=1
	s_andn2_saveexec_b64 s[0:1], s[0:1]
; %bb.37:                               ;   in Loop: Header=BB30_15 Depth=1
	v_bfe_u32 v15, v10, 23, 1
; %bb.38:                               ;   in Loop: Header=BB30_15 Depth=1
	s_or_b64 exec, exec, s[0:1]
	v_lshrrev_b64 v[10:11], 20, v[10:11]
	v_cmp_gt_i32_e32 vcc, 16, v15
	v_cndmask_b32_e32 v11, 0, v11, vcc
	v_cndmask_b32_e32 v10, 7, v10, vcc
	v_cmp_ne_u32_e32 vcc, 0, v15
	v_cmp_ne_u64_e64 s[0:1], 0, v[10:11]
	s_or_b64 s[0:1], vcc, s[0:1]
                                        ; implicit-def: $vgpr11
	s_and_saveexec_b64 s[22:23], s[0:1]
	s_xor_b64 s[0:1], exec, s[22:23]
; %bb.39:                               ;   in Loop: Header=BB30_15 Depth=1
	v_min_i32_e32 v11, 15, v15
	v_lshl_or_b32 v11, v11, 3, v14
	v_and_or_b32 v11, v10, 7, v11
                                        ; implicit-def: $vgpr14
; %bb.40:                               ;   in Loop: Header=BB30_15 Depth=1
	s_andn2_saveexec_b64 s[0:1], s[0:1]
; %bb.41:                               ;   in Loop: Header=BB30_15 Depth=1
	v_mov_b32_e32 v11, v14
; %bb.42:                               ;   in Loop: Header=BB30_15 Depth=1
	s_or_b64 exec, exec, s[0:1]
.LBB30_43:                              ;   in Loop: Header=BB30_15 Depth=1
	s_or_b64 exec, exec, s[16:17]
.LBB30_44:                              ;   in Loop: Header=BB30_15 Depth=1
	s_andn2_saveexec_b64 s[0:1], s[10:11]
	s_or_b64 exec, exec, s[0:1]
                                        ; implicit-def: $vgpr10
.LBB30_45:                              ;   in Loop: Header=BB30_15 Depth=1
	s_andn2_saveexec_b64 s[0:1], s[8:9]
; %bb.46:                               ;   in Loop: Header=BB30_15 Depth=1
	v_or_b32_sdwa v10, v10, s19 dst_sel:DWORD dst_unused:UNUSED_PAD src0_sel:BYTE_3 src1_sel:DWORD
	v_cmp_eq_u64_e32 vcc, 0, v[20:21]
	v_cndmask_b32_e32 v11, v10, v11, vcc
; %bb.47:                               ;   in Loop: Header=BB30_15 Depth=1
	s_or_b64 exec, exec, s[0:1]
	v_mul_f32_e32 v10, v12, v28
	v_mul_f32_e32 v10, v10, v16
	;; [unrolled: 1-line block ×3, first 2 shown]
	v_min_f32_e32 v10, 0x43e00000, v10
	v_max_f32_e32 v10, 0xc3e00000, v10
	v_and_b32_sdwa v12, v10, s13 dst_sel:DWORD dst_unused:UNUSED_PAD src0_sel:BYTE_3 src1_sel:DWORD
	v_and_b32_e32 v14, 0x7f800000, v10
	v_mov_b32_e32 v15, v21
	global_store_byte v[26:27], v11, off offset:1
	v_and_b32_e32 v20, 0x7fffff, v10
	v_or_b32_e32 v11, 0x7e, v12
	v_cmp_ne_u64_e32 vcc, s[4:5], v[14:15]
	s_and_saveexec_b64 s[0:1], vcc
	s_xor_b64 s[8:9], exec, s[0:1]
	s_cbranch_execz .LBB30_61
; %bb.48:                               ;   in Loop: Header=BB30_15 Depth=1
	v_and_b32_e32 v14, 0x7fffffff, v10
	v_mov_b32_e32 v15, v21
	v_cmp_gt_u64_e32 vcc, s[6:7], v[14:15]
	s_and_saveexec_b64 s[0:1], vcc
	s_xor_b64 s[10:11], exec, s[0:1]
	s_cbranch_execz .LBB30_60
; %bb.49:                               ;   in Loop: Header=BB30_15 Depth=1
	v_cmp_ne_u32_e32 vcc, 0, v10
	v_mov_b32_e32 v11, 0
	s_and_saveexec_b64 s[16:17], vcc
	s_cbranch_execz .LBB30_59
; %bb.50:                               ;   in Loop: Header=BB30_15 Depth=1
	v_bfe_u32 v10, v10, 23, 8
	v_sub_u32_e64 v11, s18, v10 clamp
	v_cmp_eq_u32_e32 vcc, 0, v10
	v_cndmask_b32_e32 v33, v11, v31, vcc
	v_add_u32_e32 v16, 0xffffff88, v10
	v_add_u32_e32 v10, 20, v33
	v_or_b32_e32 v14, 0x800000, v20
	v_lshlrev_b64 v[10:11], v10, -1
	v_cndmask_b32_e32 v20, v14, v20, vcc
	v_not_b32_e32 v11, v11
	v_not_b32_e32 v10, v10
	v_add_u32_e32 v14, 19, v33
	v_and_b32_e32 v11, 0, v11
	v_and_b32_e32 v10, v20, v10
	v_lshlrev_b64 v[14:15], v14, 1
	v_cmp_eq_u64_e64 s[0:1], v[10:11], v[14:15]
	v_lshrrev_b64 v[10:11], v33, v[20:21]
	v_and_b32_e32 v20, 0x100000, v10
	v_cndmask_b32_e32 v14, v16, v32, vcc
	v_cmp_eq_u64_e32 vcc, 0, v[20:21]
	v_lshrrev_b32_e32 v15, 23, v10
	s_and_b64 vcc, vcc, s[0:1]
	v_add3_u32 v15, v14, v33, v15
	v_subbrev_co_u32_e32 v14, vcc, 0, v10, vcc
	v_and_b32_e32 v14, 0xfffff, v14
	v_add_co_u32_e32 v10, vcc, v14, v10
	v_add_u32_e32 v16, -1, v15
	v_addc_co_u32_e32 v11, vcc, 0, v11, vcc
	v_cmp_ne_u32_e32 vcc, 0, v16
                                        ; implicit-def: $vgpr14
	s_and_saveexec_b64 s[0:1], vcc
	s_xor_b64 s[0:1], exec, s[0:1]
; %bb.51:                               ;   in Loop: Header=BB30_15 Depth=1
	v_and_b32_e32 v20, 0x1000000, v10
	v_cmp_eq_u64_e32 vcc, 0, v[20:21]
	v_cndmask_b32_e32 v14, v15, v16, vcc
	v_bfe_u32 v15, v10, 24, 1
	v_lshrrev_b64 v[10:11], v15, v[10:11]
; %bb.52:                               ;   in Loop: Header=BB30_15 Depth=1
	s_andn2_saveexec_b64 s[0:1], s[0:1]
; %bb.53:                               ;   in Loop: Header=BB30_15 Depth=1
	v_bfe_u32 v14, v10, 23, 1
; %bb.54:                               ;   in Loop: Header=BB30_15 Depth=1
	s_or_b64 exec, exec, s[0:1]
	v_lshrrev_b64 v[10:11], 20, v[10:11]
	v_cmp_gt_i32_e32 vcc, 16, v14
	v_cndmask_b32_e32 v11, 0, v11, vcc
	v_cndmask_b32_e32 v10, 7, v10, vcc
	v_cmp_ne_u32_e32 vcc, 0, v14
	v_cmp_ne_u64_e64 s[0:1], 0, v[10:11]
	s_or_b64 s[0:1], vcc, s[0:1]
                                        ; implicit-def: $vgpr11
	s_and_saveexec_b64 s[22:23], s[0:1]
	s_xor_b64 s[0:1], exec, s[22:23]
; %bb.55:                               ;   in Loop: Header=BB30_15 Depth=1
	v_min_i32_e32 v11, 15, v14
	v_lshl_or_b32 v11, v11, 3, v12
	v_and_or_b32 v11, v10, 7, v11
                                        ; implicit-def: $vgpr12
; %bb.56:                               ;   in Loop: Header=BB30_15 Depth=1
	s_andn2_saveexec_b64 s[0:1], s[0:1]
; %bb.57:                               ;   in Loop: Header=BB30_15 Depth=1
	v_mov_b32_e32 v11, v12
; %bb.58:                               ;   in Loop: Header=BB30_15 Depth=1
	s_or_b64 exec, exec, s[0:1]
.LBB30_59:                              ;   in Loop: Header=BB30_15 Depth=1
	s_or_b64 exec, exec, s[16:17]
.LBB30_60:                              ;   in Loop: Header=BB30_15 Depth=1
	s_andn2_saveexec_b64 s[0:1], s[10:11]
	s_or_b64 exec, exec, s[0:1]
                                        ; implicit-def: $vgpr10
.LBB30_61:                              ;   in Loop: Header=BB30_15 Depth=1
	s_andn2_saveexec_b64 s[0:1], s[8:9]
; %bb.62:                               ;   in Loop: Header=BB30_15 Depth=1
	v_or_b32_sdwa v10, v10, s19 dst_sel:DWORD dst_unused:UNUSED_PAD src0_sel:BYTE_3 src1_sel:DWORD
	v_cmp_eq_u64_e32 vcc, 0, v[20:21]
	v_cndmask_b32_e32 v11, v10, v11, vcc
; %bb.63:                               ;   in Loop: Header=BB30_15 Depth=1
	s_or_b64 exec, exec, s[0:1]
	v_mul_f32_e32 v10, v13, v28
	v_mul_f32_e32 v10, v10, v17
	;; [unrolled: 1-line block ×3, first 2 shown]
	v_min_f32_e32 v10, 0x43e00000, v10
	v_max_f32_e32 v10, 0xc3e00000, v10
	v_and_b32_sdwa v12, v10, s13 dst_sel:DWORD dst_unused:UNUSED_PAD src0_sel:BYTE_3 src1_sel:DWORD
	v_and_b32_e32 v14, 0x7f800000, v10
	v_mov_b32_e32 v15, v21
	global_store_byte v[26:27], v11, off offset:2
	v_and_b32_e32 v20, 0x7fffff, v10
	v_or_b32_e32 v11, 0x7e, v12
	v_cmp_ne_u64_e32 vcc, s[4:5], v[14:15]
	s_and_saveexec_b64 s[0:1], vcc
	s_xor_b64 s[8:9], exec, s[0:1]
	s_cbranch_execz .LBB30_77
; %bb.64:                               ;   in Loop: Header=BB30_15 Depth=1
	v_and_b32_e32 v14, 0x7fffffff, v10
	v_mov_b32_e32 v15, v21
	v_cmp_gt_u64_e32 vcc, s[6:7], v[14:15]
	s_and_saveexec_b64 s[0:1], vcc
	s_xor_b64 s[10:11], exec, s[0:1]
	s_cbranch_execz .LBB30_76
; %bb.65:                               ;   in Loop: Header=BB30_15 Depth=1
	v_cmp_ne_u32_e32 vcc, 0, v10
	v_mov_b32_e32 v11, 0
	s_and_saveexec_b64 s[16:17], vcc
	s_cbranch_execz .LBB30_75
; %bb.66:                               ;   in Loop: Header=BB30_15 Depth=1
	v_bfe_u32 v10, v10, 23, 8
	v_sub_u32_e64 v11, s18, v10 clamp
	v_cmp_eq_u32_e32 vcc, 0, v10
	v_cndmask_b32_e32 v17, v11, v31, vcc
	v_add_u32_e32 v16, 0xffffff88, v10
	v_add_u32_e32 v10, 20, v17
	v_or_b32_e32 v13, 0x800000, v20
	v_lshlrev_b64 v[10:11], v10, -1
	v_cndmask_b32_e32 v20, v13, v20, vcc
	v_not_b32_e32 v11, v11
	v_not_b32_e32 v10, v10
	v_add_u32_e32 v13, 19, v17
	v_and_b32_e32 v11, 0, v11
	v_and_b32_e32 v10, v20, v10
	v_lshlrev_b64 v[14:15], v13, 1
	v_cmp_eq_u64_e64 s[0:1], v[10:11], v[14:15]
	v_lshrrev_b64 v[10:11], v17, v[20:21]
	v_and_b32_e32 v20, 0x100000, v10
	v_cndmask_b32_e32 v13, v16, v32, vcc
	v_cmp_eq_u64_e32 vcc, 0, v[20:21]
	v_lshrrev_b32_e32 v14, 23, v10
	s_and_b64 vcc, vcc, s[0:1]
	v_add3_u32 v14, v13, v17, v14
	v_subbrev_co_u32_e32 v13, vcc, 0, v10, vcc
	v_and_b32_e32 v13, 0xfffff, v13
	v_add_co_u32_e32 v10, vcc, v13, v10
	v_add_u32_e32 v15, -1, v14
	v_addc_co_u32_e32 v11, vcc, 0, v11, vcc
	v_cmp_ne_u32_e32 vcc, 0, v15
                                        ; implicit-def: $vgpr13
	s_and_saveexec_b64 s[0:1], vcc
	s_xor_b64 s[0:1], exec, s[0:1]
; %bb.67:                               ;   in Loop: Header=BB30_15 Depth=1
	v_and_b32_e32 v20, 0x1000000, v10
	v_cmp_eq_u64_e32 vcc, 0, v[20:21]
	v_cndmask_b32_e32 v13, v14, v15, vcc
	v_bfe_u32 v14, v10, 24, 1
	v_lshrrev_b64 v[10:11], v14, v[10:11]
; %bb.68:                               ;   in Loop: Header=BB30_15 Depth=1
	s_andn2_saveexec_b64 s[0:1], s[0:1]
; %bb.69:                               ;   in Loop: Header=BB30_15 Depth=1
	v_bfe_u32 v13, v10, 23, 1
; %bb.70:                               ;   in Loop: Header=BB30_15 Depth=1
	s_or_b64 exec, exec, s[0:1]
	v_lshrrev_b64 v[10:11], 20, v[10:11]
	v_cmp_gt_i32_e32 vcc, 16, v13
	v_cndmask_b32_e32 v11, 0, v11, vcc
	v_cndmask_b32_e32 v10, 7, v10, vcc
	v_cmp_ne_u32_e32 vcc, 0, v13
	v_cmp_ne_u64_e64 s[0:1], 0, v[10:11]
	s_or_b64 s[0:1], vcc, s[0:1]
                                        ; implicit-def: $vgpr11
	s_and_saveexec_b64 s[22:23], s[0:1]
	s_xor_b64 s[0:1], exec, s[22:23]
; %bb.71:                               ;   in Loop: Header=BB30_15 Depth=1
	v_min_i32_e32 v11, 15, v13
	v_lshl_or_b32 v11, v11, 3, v12
	v_and_or_b32 v11, v10, 7, v11
                                        ; implicit-def: $vgpr12
; %bb.72:                               ;   in Loop: Header=BB30_15 Depth=1
	s_andn2_saveexec_b64 s[0:1], s[0:1]
; %bb.73:                               ;   in Loop: Header=BB30_15 Depth=1
	v_mov_b32_e32 v11, v12
; %bb.74:                               ;   in Loop: Header=BB30_15 Depth=1
	s_or_b64 exec, exec, s[0:1]
.LBB30_75:                              ;   in Loop: Header=BB30_15 Depth=1
	s_or_b64 exec, exec, s[16:17]
.LBB30_76:                              ;   in Loop: Header=BB30_15 Depth=1
	s_andn2_saveexec_b64 s[0:1], s[10:11]
	s_or_b64 exec, exec, s[0:1]
                                        ; implicit-def: $vgpr10
.LBB30_77:                              ;   in Loop: Header=BB30_15 Depth=1
	s_andn2_saveexec_b64 s[0:1], s[8:9]
; %bb.78:                               ;   in Loop: Header=BB30_15 Depth=1
	v_or_b32_sdwa v10, v10, s19 dst_sel:DWORD dst_unused:UNUSED_PAD src0_sel:BYTE_3 src1_sel:DWORD
	v_cmp_eq_u64_e32 vcc, 0, v[20:21]
	v_cndmask_b32_e32 v11, v10, v11, vcc
; %bb.79:                               ;   in Loop: Header=BB30_15 Depth=1
	s_or_b64 exec, exec, s[0:1]
	s_waitcnt vmcnt(4)
	v_mul_f32_e32 v2, v2, v28
	s_waitcnt vmcnt(3)
	v_mul_f32_e32 v2, v2, v6
	v_mul_f32_e32 v2, v29, v2
	v_min_f32_e32 v2, 0x43e00000, v2
	v_max_f32_e32 v10, 0xc3e00000, v2
	v_and_b32_sdwa v2, v10, s13 dst_sel:DWORD dst_unused:UNUSED_PAD src0_sel:BYTE_3 src1_sel:DWORD
	v_and_b32_e32 v12, 0x7f800000, v10
	v_mov_b32_e32 v13, v21
	v_and_b32_e32 v20, 0x7fffff, v10
	v_or_b32_e32 v6, 0x7e, v2
	v_cmp_ne_u64_e32 vcc, s[4:5], v[12:13]
	global_store_byte v[26:27], v11, off offset:3
	s_and_saveexec_b64 s[0:1], vcc
	s_xor_b64 s[8:9], exec, s[0:1]
	s_cbranch_execz .LBB30_93
; %bb.80:                               ;   in Loop: Header=BB30_15 Depth=1
	v_and_b32_e32 v12, 0x7fffffff, v10
	v_mov_b32_e32 v13, v21
	v_cmp_gt_u64_e32 vcc, s[6:7], v[12:13]
	s_and_saveexec_b64 s[0:1], vcc
	s_xor_b64 s[10:11], exec, s[0:1]
	s_cbranch_execz .LBB30_92
; %bb.81:                               ;   in Loop: Header=BB30_15 Depth=1
	v_cmp_ne_u32_e32 vcc, 0, v10
	v_mov_b32_e32 v6, 0
	s_and_saveexec_b64 s[16:17], vcc
	s_cbranch_execz .LBB30_91
; %bb.82:                               ;   in Loop: Header=BB30_15 Depth=1
	v_bfe_u32 v6, v10, 23, 8
	v_sub_u32_e64 v10, s18, v6 clamp
	v_cmp_eq_u32_e32 vcc, 0, v6
	v_add_u32_e32 v14, 0xffffff88, v6
	v_cndmask_b32_e32 v6, v10, v31, vcc
	v_or_b32_e32 v11, 0x800000, v20
	v_add_u32_e32 v10, 20, v6
	v_cndmask_b32_e32 v20, v11, v20, vcc
	v_lshlrev_b64 v[10:11], v10, -1
	v_not_b32_e32 v11, v11
	v_not_b32_e32 v10, v10
	v_add_u32_e32 v12, 19, v6
	v_and_b32_e32 v11, 0, v11
	v_and_b32_e32 v10, v20, v10
	v_lshlrev_b64 v[12:13], v12, 1
	v_cmp_eq_u64_e64 s[0:1], v[10:11], v[12:13]
	v_lshrrev_b64 v[10:11], v6, v[20:21]
	v_and_b32_e32 v20, 0x100000, v10
	v_cndmask_b32_e32 v12, v14, v32, vcc
	v_cmp_eq_u64_e32 vcc, 0, v[20:21]
	v_lshrrev_b32_e32 v13, 23, v10
	s_and_b64 vcc, vcc, s[0:1]
	v_add3_u32 v6, v12, v6, v13
	v_subbrev_co_u32_e32 v12, vcc, 0, v10, vcc
	v_and_b32_e32 v12, 0xfffff, v12
	v_add_co_u32_e32 v10, vcc, v12, v10
	v_add_u32_e32 v13, -1, v6
	v_addc_co_u32_e32 v11, vcc, 0, v11, vcc
	v_cmp_ne_u32_e32 vcc, 0, v13
                                        ; implicit-def: $vgpr12
	s_and_saveexec_b64 s[0:1], vcc
	s_xor_b64 s[0:1], exec, s[0:1]
; %bb.83:                               ;   in Loop: Header=BB30_15 Depth=1
	v_and_b32_e32 v20, 0x1000000, v10
	v_cmp_eq_u64_e32 vcc, 0, v[20:21]
	v_cndmask_b32_e32 v12, v6, v13, vcc
	v_bfe_u32 v6, v10, 24, 1
	v_lshrrev_b64 v[10:11], v6, v[10:11]
; %bb.84:                               ;   in Loop: Header=BB30_15 Depth=1
	s_andn2_saveexec_b64 s[0:1], s[0:1]
; %bb.85:                               ;   in Loop: Header=BB30_15 Depth=1
	v_bfe_u32 v12, v10, 23, 1
; %bb.86:                               ;   in Loop: Header=BB30_15 Depth=1
	s_or_b64 exec, exec, s[0:1]
	v_lshrrev_b64 v[10:11], 20, v[10:11]
	v_cmp_gt_i32_e32 vcc, 16, v12
	v_cndmask_b32_e32 v11, 0, v11, vcc
	v_cndmask_b32_e32 v10, 7, v10, vcc
	v_cmp_ne_u32_e32 vcc, 0, v12
	v_cmp_ne_u64_e64 s[0:1], 0, v[10:11]
	s_or_b64 s[0:1], vcc, s[0:1]
                                        ; implicit-def: $vgpr6
	s_and_saveexec_b64 s[22:23], s[0:1]
	s_xor_b64 s[0:1], exec, s[22:23]
; %bb.87:                               ;   in Loop: Header=BB30_15 Depth=1
	v_min_i32_e32 v6, 15, v12
	v_lshl_or_b32 v2, v6, 3, v2
	v_and_or_b32 v6, v10, 7, v2
                                        ; implicit-def: $vgpr2
; %bb.88:                               ;   in Loop: Header=BB30_15 Depth=1
	s_andn2_saveexec_b64 s[0:1], s[0:1]
; %bb.89:                               ;   in Loop: Header=BB30_15 Depth=1
	v_mov_b32_e32 v6, v2
; %bb.90:                               ;   in Loop: Header=BB30_15 Depth=1
	s_or_b64 exec, exec, s[0:1]
.LBB30_91:                              ;   in Loop: Header=BB30_15 Depth=1
	s_or_b64 exec, exec, s[16:17]
.LBB30_92:                              ;   in Loop: Header=BB30_15 Depth=1
	s_andn2_saveexec_b64 s[0:1], s[10:11]
	s_or_b64 exec, exec, s[0:1]
                                        ; implicit-def: $vgpr10
.LBB30_93:                              ;   in Loop: Header=BB30_15 Depth=1
	s_andn2_saveexec_b64 s[0:1], s[8:9]
; %bb.94:                               ;   in Loop: Header=BB30_15 Depth=1
	v_or_b32_sdwa v2, v10, s19 dst_sel:DWORD dst_unused:UNUSED_PAD src0_sel:BYTE_3 src1_sel:DWORD
	v_cmp_eq_u64_e32 vcc, 0, v[20:21]
	v_cndmask_b32_e32 v6, v2, v6, vcc
; %bb.95:                               ;   in Loop: Header=BB30_15 Depth=1
	s_or_b64 exec, exec, s[0:1]
	v_mul_f32_e32 v2, v3, v28
	v_mul_f32_e32 v2, v2, v7
	;; [unrolled: 1-line block ×3, first 2 shown]
	v_min_f32_e32 v2, 0x43e00000, v2
	v_max_f32_e32 v2, 0xc3e00000, v2
	global_store_byte v[26:27], v6, off offset:4
	v_and_b32_sdwa v6, v2, s13 dst_sel:DWORD dst_unused:UNUSED_PAD src0_sel:BYTE_3 src1_sel:DWORD
	v_and_b32_e32 v10, 0x7f800000, v2
	v_mov_b32_e32 v11, v21
	v_and_b32_e32 v20, 0x7fffff, v2
	v_or_b32_e32 v3, 0x7e, v6
	v_cmp_ne_u64_e32 vcc, s[4:5], v[10:11]
	s_and_saveexec_b64 s[0:1], vcc
	s_xor_b64 s[8:9], exec, s[0:1]
	s_cbranch_execz .LBB30_109
; %bb.96:                               ;   in Loop: Header=BB30_15 Depth=1
	v_and_b32_e32 v10, 0x7fffffff, v2
	v_mov_b32_e32 v11, v21
	v_cmp_gt_u64_e32 vcc, s[6:7], v[10:11]
	s_and_saveexec_b64 s[0:1], vcc
	s_xor_b64 s[10:11], exec, s[0:1]
	s_cbranch_execz .LBB30_108
; %bb.97:                               ;   in Loop: Header=BB30_15 Depth=1
	v_cmp_ne_u32_e32 vcc, 0, v2
	v_mov_b32_e32 v3, 0
	s_and_saveexec_b64 s[16:17], vcc
	s_cbranch_execz .LBB30_107
; %bb.98:                               ;   in Loop: Header=BB30_15 Depth=1
	v_bfe_u32 v2, v2, 23, 8
	v_sub_u32_e64 v3, s18, v2 clamp
	v_cmp_eq_u32_e32 vcc, 0, v2
	v_cndmask_b32_e32 v13, v3, v31, vcc
	v_add_u32_e32 v12, 0xffffff88, v2
	v_add_u32_e32 v2, 20, v13
	v_or_b32_e32 v7, 0x800000, v20
	v_lshlrev_b64 v[2:3], v2, -1
	v_cndmask_b32_e32 v20, v7, v20, vcc
	v_not_b32_e32 v3, v3
	v_not_b32_e32 v2, v2
	v_add_u32_e32 v7, 19, v13
	v_and_b32_e32 v3, 0, v3
	v_and_b32_e32 v2, v20, v2
	v_lshlrev_b64 v[10:11], v7, 1
	v_cmp_eq_u64_e64 s[0:1], v[2:3], v[10:11]
	v_lshrrev_b64 v[2:3], v13, v[20:21]
	v_and_b32_e32 v20, 0x100000, v2
	v_cndmask_b32_e32 v7, v12, v32, vcc
	v_cmp_eq_u64_e32 vcc, 0, v[20:21]
	v_lshrrev_b32_e32 v10, 23, v2
	s_and_b64 vcc, vcc, s[0:1]
	v_add3_u32 v10, v7, v13, v10
	v_subbrev_co_u32_e32 v7, vcc, 0, v2, vcc
	v_and_b32_e32 v7, 0xfffff, v7
	v_add_co_u32_e32 v2, vcc, v7, v2
	v_add_u32_e32 v11, -1, v10
	v_addc_co_u32_e32 v3, vcc, 0, v3, vcc
	v_cmp_ne_u32_e32 vcc, 0, v11
                                        ; implicit-def: $vgpr7
	s_and_saveexec_b64 s[0:1], vcc
	s_xor_b64 s[0:1], exec, s[0:1]
; %bb.99:                               ;   in Loop: Header=BB30_15 Depth=1
	v_and_b32_e32 v20, 0x1000000, v2
	v_cmp_eq_u64_e32 vcc, 0, v[20:21]
	v_cndmask_b32_e32 v7, v10, v11, vcc
	v_bfe_u32 v10, v2, 24, 1
	v_lshrrev_b64 v[2:3], v10, v[2:3]
; %bb.100:                              ;   in Loop: Header=BB30_15 Depth=1
	s_andn2_saveexec_b64 s[0:1], s[0:1]
; %bb.101:                              ;   in Loop: Header=BB30_15 Depth=1
	v_bfe_u32 v7, v2, 23, 1
; %bb.102:                              ;   in Loop: Header=BB30_15 Depth=1
	s_or_b64 exec, exec, s[0:1]
	v_lshrrev_b64 v[2:3], 20, v[2:3]
	v_cmp_gt_i32_e32 vcc, 16, v7
	v_cndmask_b32_e32 v3, 0, v3, vcc
	v_cndmask_b32_e32 v2, 7, v2, vcc
	v_cmp_ne_u32_e32 vcc, 0, v7
	v_cmp_ne_u64_e64 s[0:1], 0, v[2:3]
	s_or_b64 s[0:1], vcc, s[0:1]
                                        ; implicit-def: $vgpr3
	s_and_saveexec_b64 s[22:23], s[0:1]
	s_xor_b64 s[0:1], exec, s[22:23]
; %bb.103:                              ;   in Loop: Header=BB30_15 Depth=1
	v_min_i32_e32 v3, 15, v7
	v_lshl_or_b32 v3, v3, 3, v6
	v_and_or_b32 v3, v2, 7, v3
                                        ; implicit-def: $vgpr6
; %bb.104:                              ;   in Loop: Header=BB30_15 Depth=1
	s_andn2_saveexec_b64 s[0:1], s[0:1]
; %bb.105:                              ;   in Loop: Header=BB30_15 Depth=1
	v_mov_b32_e32 v3, v6
; %bb.106:                              ;   in Loop: Header=BB30_15 Depth=1
	s_or_b64 exec, exec, s[0:1]
.LBB30_107:                             ;   in Loop: Header=BB30_15 Depth=1
	s_or_b64 exec, exec, s[16:17]
.LBB30_108:                             ;   in Loop: Header=BB30_15 Depth=1
	s_andn2_saveexec_b64 s[0:1], s[10:11]
	s_or_b64 exec, exec, s[0:1]
                                        ; implicit-def: $vgpr2
.LBB30_109:                             ;   in Loop: Header=BB30_15 Depth=1
	s_andn2_saveexec_b64 s[0:1], s[8:9]
; %bb.110:                              ;   in Loop: Header=BB30_15 Depth=1
	v_or_b32_sdwa v2, v2, s19 dst_sel:DWORD dst_unused:UNUSED_PAD src0_sel:BYTE_3 src1_sel:DWORD
	v_cmp_eq_u64_e32 vcc, 0, v[20:21]
	v_cndmask_b32_e32 v3, v2, v3, vcc
; %bb.111:                              ;   in Loop: Header=BB30_15 Depth=1
	s_or_b64 exec, exec, s[0:1]
	v_mul_f32_e32 v2, v4, v28
	v_mul_f32_e32 v2, v2, v8
	;; [unrolled: 1-line block ×3, first 2 shown]
	v_min_f32_e32 v2, 0x43e00000, v2
	v_max_f32_e32 v2, 0xc3e00000, v2
	v_and_b32_sdwa v4, v2, s13 dst_sel:DWORD dst_unused:UNUSED_PAD src0_sel:BYTE_3 src1_sel:DWORD
	v_and_b32_e32 v6, 0x7f800000, v2
	v_mov_b32_e32 v7, v21
	global_store_byte v[26:27], v3, off offset:5
	v_and_b32_e32 v20, 0x7fffff, v2
	v_or_b32_e32 v3, 0x7e, v4
	v_cmp_ne_u64_e32 vcc, s[4:5], v[6:7]
	s_and_saveexec_b64 s[0:1], vcc
	s_xor_b64 s[8:9], exec, s[0:1]
	s_cbranch_execz .LBB30_125
; %bb.112:                              ;   in Loop: Header=BB30_15 Depth=1
	v_and_b32_e32 v6, 0x7fffffff, v2
	v_mov_b32_e32 v7, v21
	v_cmp_gt_u64_e32 vcc, s[6:7], v[6:7]
	s_and_saveexec_b64 s[0:1], vcc
	s_xor_b64 s[10:11], exec, s[0:1]
	s_cbranch_execz .LBB30_124
; %bb.113:                              ;   in Loop: Header=BB30_15 Depth=1
	v_cmp_ne_u32_e32 vcc, 0, v2
	v_mov_b32_e32 v3, 0
	s_and_saveexec_b64 s[16:17], vcc
	s_cbranch_execz .LBB30_123
; %bb.114:                              ;   in Loop: Header=BB30_15 Depth=1
	v_bfe_u32 v2, v2, 23, 8
	v_sub_u32_e64 v3, s18, v2 clamp
	v_cmp_eq_u32_e32 vcc, 0, v2
	v_cndmask_b32_e32 v10, v3, v31, vcc
	v_add_u32_e32 v8, 0xffffff88, v2
	v_add_u32_e32 v2, 20, v10
	v_or_b32_e32 v6, 0x800000, v20
	v_lshlrev_b64 v[2:3], v2, -1
	v_cndmask_b32_e32 v20, v6, v20, vcc
	v_not_b32_e32 v3, v3
	v_not_b32_e32 v2, v2
	v_add_u32_e32 v6, 19, v10
	v_and_b32_e32 v3, 0, v3
	v_and_b32_e32 v2, v20, v2
	v_lshlrev_b64 v[6:7], v6, 1
	v_cmp_eq_u64_e64 s[0:1], v[2:3], v[6:7]
	v_lshrrev_b64 v[2:3], v10, v[20:21]
	v_and_b32_e32 v20, 0x100000, v2
	v_cndmask_b32_e32 v6, v8, v32, vcc
	v_cmp_eq_u64_e32 vcc, 0, v[20:21]
	v_lshrrev_b32_e32 v7, 23, v2
	s_and_b64 vcc, vcc, s[0:1]
	v_add3_u32 v7, v6, v10, v7
	v_subbrev_co_u32_e32 v6, vcc, 0, v2, vcc
	v_and_b32_e32 v6, 0xfffff, v6
	v_add_co_u32_e32 v2, vcc, v6, v2
	v_add_u32_e32 v8, -1, v7
	v_addc_co_u32_e32 v3, vcc, 0, v3, vcc
	v_cmp_ne_u32_e32 vcc, 0, v8
                                        ; implicit-def: $vgpr6
	s_and_saveexec_b64 s[0:1], vcc
	s_xor_b64 s[0:1], exec, s[0:1]
; %bb.115:                              ;   in Loop: Header=BB30_15 Depth=1
	v_and_b32_e32 v20, 0x1000000, v2
	v_cmp_eq_u64_e32 vcc, 0, v[20:21]
	v_cndmask_b32_e32 v6, v7, v8, vcc
	v_bfe_u32 v7, v2, 24, 1
	v_lshrrev_b64 v[2:3], v7, v[2:3]
; %bb.116:                              ;   in Loop: Header=BB30_15 Depth=1
	s_andn2_saveexec_b64 s[0:1], s[0:1]
; %bb.117:                              ;   in Loop: Header=BB30_15 Depth=1
	v_bfe_u32 v6, v2, 23, 1
; %bb.118:                              ;   in Loop: Header=BB30_15 Depth=1
	s_or_b64 exec, exec, s[0:1]
	v_lshrrev_b64 v[2:3], 20, v[2:3]
	v_cmp_gt_i32_e32 vcc, 16, v6
	v_cndmask_b32_e32 v3, 0, v3, vcc
	v_cndmask_b32_e32 v2, 7, v2, vcc
	v_cmp_ne_u32_e32 vcc, 0, v6
	v_cmp_ne_u64_e64 s[0:1], 0, v[2:3]
	s_or_b64 s[0:1], vcc, s[0:1]
                                        ; implicit-def: $vgpr3
	s_and_saveexec_b64 s[22:23], s[0:1]
	s_xor_b64 s[0:1], exec, s[22:23]
; %bb.119:                              ;   in Loop: Header=BB30_15 Depth=1
	v_min_i32_e32 v3, 15, v6
	v_lshl_or_b32 v3, v3, 3, v4
	v_and_or_b32 v3, v2, 7, v3
                                        ; implicit-def: $vgpr4
; %bb.120:                              ;   in Loop: Header=BB30_15 Depth=1
	s_andn2_saveexec_b64 s[0:1], s[0:1]
; %bb.121:                              ;   in Loop: Header=BB30_15 Depth=1
	v_mov_b32_e32 v3, v4
; %bb.122:                              ;   in Loop: Header=BB30_15 Depth=1
	s_or_b64 exec, exec, s[0:1]
.LBB30_123:                             ;   in Loop: Header=BB30_15 Depth=1
	s_or_b64 exec, exec, s[16:17]
.LBB30_124:                             ;   in Loop: Header=BB30_15 Depth=1
	s_andn2_saveexec_b64 s[0:1], s[10:11]
	s_or_b64 exec, exec, s[0:1]
                                        ; implicit-def: $vgpr2
.LBB30_125:                             ;   in Loop: Header=BB30_15 Depth=1
	s_andn2_saveexec_b64 s[0:1], s[8:9]
; %bb.126:                              ;   in Loop: Header=BB30_15 Depth=1
	v_or_b32_sdwa v2, v2, s19 dst_sel:DWORD dst_unused:UNUSED_PAD src0_sel:BYTE_3 src1_sel:DWORD
	v_cmp_eq_u64_e32 vcc, 0, v[20:21]
	v_cndmask_b32_e32 v3, v2, v3, vcc
; %bb.127:                              ;   in Loop: Header=BB30_15 Depth=1
	s_or_b64 exec, exec, s[0:1]
	v_mul_f32_e32 v2, v5, v28
	v_mul_f32_e32 v2, v2, v9
	;; [unrolled: 1-line block ×3, first 2 shown]
	v_min_f32_e32 v2, 0x43e00000, v2
	v_max_f32_e32 v2, 0xc3e00000, v2
	v_and_b32_sdwa v4, v2, s13 dst_sel:DWORD dst_unused:UNUSED_PAD src0_sel:BYTE_3 src1_sel:DWORD
	v_and_b32_e32 v6, 0x7f800000, v2
	v_mov_b32_e32 v7, v21
	global_store_byte v[26:27], v3, off offset:6
	v_and_b32_e32 v20, 0x7fffff, v2
	v_or_b32_e32 v3, 0x7e, v4
	v_cmp_ne_u64_e32 vcc, s[4:5], v[6:7]
	s_and_saveexec_b64 s[0:1], vcc
	s_xor_b64 s[8:9], exec, s[0:1]
	s_cbranch_execz .LBB30_141
; %bb.128:                              ;   in Loop: Header=BB30_15 Depth=1
	v_and_b32_e32 v6, 0x7fffffff, v2
	v_mov_b32_e32 v7, v21
	v_cmp_gt_u64_e32 vcc, s[6:7], v[6:7]
	s_and_saveexec_b64 s[0:1], vcc
	s_xor_b64 s[10:11], exec, s[0:1]
	s_cbranch_execz .LBB30_140
; %bb.129:                              ;   in Loop: Header=BB30_15 Depth=1
	v_cmp_ne_u32_e32 vcc, 0, v2
	v_mov_b32_e32 v3, 0
	s_and_saveexec_b64 s[16:17], vcc
	s_cbranch_execz .LBB30_139
; %bb.130:                              ;   in Loop: Header=BB30_15 Depth=1
	v_bfe_u32 v2, v2, 23, 8
	v_sub_u32_e64 v3, s18, v2 clamp
	v_cmp_eq_u32_e32 vcc, 0, v2
	v_cndmask_b32_e32 v9, v3, v31, vcc
	v_add_u32_e32 v8, 0xffffff88, v2
	v_add_u32_e32 v2, 20, v9
	v_or_b32_e32 v5, 0x800000, v20
	v_lshlrev_b64 v[2:3], v2, -1
	v_cndmask_b32_e32 v20, v5, v20, vcc
	v_not_b32_e32 v3, v3
	v_not_b32_e32 v2, v2
	v_add_u32_e32 v5, 19, v9
	v_and_b32_e32 v3, 0, v3
	v_and_b32_e32 v2, v20, v2
	v_lshlrev_b64 v[6:7], v5, 1
	v_cmp_eq_u64_e64 s[0:1], v[2:3], v[6:7]
	v_lshrrev_b64 v[2:3], v9, v[20:21]
	v_and_b32_e32 v20, 0x100000, v2
	v_cndmask_b32_e32 v5, v8, v32, vcc
	v_cmp_eq_u64_e32 vcc, 0, v[20:21]
	v_lshrrev_b32_e32 v6, 23, v2
	s_and_b64 vcc, vcc, s[0:1]
	v_add3_u32 v6, v5, v9, v6
	v_subbrev_co_u32_e32 v5, vcc, 0, v2, vcc
	v_and_b32_e32 v5, 0xfffff, v5
	v_add_co_u32_e32 v2, vcc, v5, v2
	v_add_u32_e32 v7, -1, v6
	v_addc_co_u32_e32 v3, vcc, 0, v3, vcc
	v_cmp_ne_u32_e32 vcc, 0, v7
                                        ; implicit-def: $vgpr5
	s_and_saveexec_b64 s[0:1], vcc
	s_xor_b64 s[0:1], exec, s[0:1]
; %bb.131:                              ;   in Loop: Header=BB30_15 Depth=1
	v_and_b32_e32 v20, 0x1000000, v2
	v_cmp_eq_u64_e32 vcc, 0, v[20:21]
	v_cndmask_b32_e32 v5, v6, v7, vcc
	v_bfe_u32 v6, v2, 24, 1
	v_lshrrev_b64 v[2:3], v6, v[2:3]
; %bb.132:                              ;   in Loop: Header=BB30_15 Depth=1
	s_andn2_saveexec_b64 s[0:1], s[0:1]
; %bb.133:                              ;   in Loop: Header=BB30_15 Depth=1
	v_bfe_u32 v5, v2, 23, 1
; %bb.134:                              ;   in Loop: Header=BB30_15 Depth=1
	s_or_b64 exec, exec, s[0:1]
	v_lshrrev_b64 v[2:3], 20, v[2:3]
	v_cmp_gt_i32_e32 vcc, 16, v5
	v_cndmask_b32_e32 v3, 0, v3, vcc
	v_cndmask_b32_e32 v2, 7, v2, vcc
	v_cmp_ne_u32_e32 vcc, 0, v5
	v_cmp_ne_u64_e64 s[0:1], 0, v[2:3]
	s_or_b64 s[0:1], vcc, s[0:1]
                                        ; implicit-def: $vgpr3
	s_and_saveexec_b64 s[22:23], s[0:1]
	s_xor_b64 s[0:1], exec, s[22:23]
; %bb.135:                              ;   in Loop: Header=BB30_15 Depth=1
	v_min_i32_e32 v3, 15, v5
	v_lshl_or_b32 v3, v3, 3, v4
	v_and_or_b32 v3, v2, 7, v3
                                        ; implicit-def: $vgpr4
; %bb.136:                              ;   in Loop: Header=BB30_15 Depth=1
	s_andn2_saveexec_b64 s[0:1], s[0:1]
; %bb.137:                              ;   in Loop: Header=BB30_15 Depth=1
	v_mov_b32_e32 v3, v4
; %bb.138:                              ;   in Loop: Header=BB30_15 Depth=1
	s_or_b64 exec, exec, s[0:1]
.LBB30_139:                             ;   in Loop: Header=BB30_15 Depth=1
	s_or_b64 exec, exec, s[16:17]
.LBB30_140:                             ;   in Loop: Header=BB30_15 Depth=1
	s_andn2_saveexec_b64 s[0:1], s[10:11]
	s_or_b64 exec, exec, s[0:1]
                                        ; implicit-def: $vgpr2
.LBB30_141:                             ;   in Loop: Header=BB30_15 Depth=1
	s_andn2_saveexec_b64 s[0:1], s[8:9]
	s_cbranch_execz .LBB30_14
; %bb.142:                              ;   in Loop: Header=BB30_15 Depth=1
	v_or_b32_sdwa v2, v2, s19 dst_sel:DWORD dst_unused:UNUSED_PAD src0_sel:BYTE_3 src1_sel:DWORD
	v_cmp_eq_u64_e32 vcc, 0, v[20:21]
	v_cndmask_b32_e32 v3, v2, v3, vcc
	s_branch .LBB30_14
.LBB30_143:
	s_endpgm
	.section	.rodata,"a",@progbits
	.p2align	6, 0x0
	.amdhsa_kernel _ZN4vllm42fused_add_rms_norm_static_fp8_quant_kernelIfLi8EN3c1013Float8_e4m3fnEEENSt9enable_ifIXaagtT0_Li0Esr12_typeConvertIT_EE6existsEvE4typeEPT1_PS4_iS9_PKS4_PKffii
		.amdhsa_group_segment_fixed_size 68
		.amdhsa_private_segment_fixed_size 0
		.amdhsa_kernarg_size 320
		.amdhsa_user_sgpr_count 6
		.amdhsa_user_sgpr_private_segment_buffer 1
		.amdhsa_user_sgpr_dispatch_ptr 0
		.amdhsa_user_sgpr_queue_ptr 0
		.amdhsa_user_sgpr_kernarg_segment_ptr 1
		.amdhsa_user_sgpr_dispatch_id 0
		.amdhsa_user_sgpr_flat_scratch_init 0
		.amdhsa_user_sgpr_kernarg_preload_length 0
		.amdhsa_user_sgpr_kernarg_preload_offset 0
		.amdhsa_user_sgpr_private_segment_size 0
		.amdhsa_uses_dynamic_stack 0
		.amdhsa_system_sgpr_private_segment_wavefront_offset 0
		.amdhsa_system_sgpr_workgroup_id_x 1
		.amdhsa_system_sgpr_workgroup_id_y 0
		.amdhsa_system_sgpr_workgroup_id_z 0
		.amdhsa_system_sgpr_workgroup_info 0
		.amdhsa_system_vgpr_workitem_id 0
		.amdhsa_next_free_vgpr 37
		.amdhsa_next_free_sgpr 25
		.amdhsa_accum_offset 40
		.amdhsa_reserve_vcc 1
		.amdhsa_reserve_flat_scratch 0
		.amdhsa_float_round_mode_32 0
		.amdhsa_float_round_mode_16_64 0
		.amdhsa_float_denorm_mode_32 3
		.amdhsa_float_denorm_mode_16_64 3
		.amdhsa_dx10_clamp 1
		.amdhsa_ieee_mode 1
		.amdhsa_fp16_overflow 0
		.amdhsa_tg_split 0
		.amdhsa_exception_fp_ieee_invalid_op 0
		.amdhsa_exception_fp_denorm_src 0
		.amdhsa_exception_fp_ieee_div_zero 0
		.amdhsa_exception_fp_ieee_overflow 0
		.amdhsa_exception_fp_ieee_underflow 0
		.amdhsa_exception_fp_ieee_inexact 0
		.amdhsa_exception_int_div_zero 0
	.end_amdhsa_kernel
	.section	.text._ZN4vllm42fused_add_rms_norm_static_fp8_quant_kernelIfLi8EN3c1013Float8_e4m3fnEEENSt9enable_ifIXaagtT0_Li0Esr12_typeConvertIT_EE6existsEvE4typeEPT1_PS4_iS9_PKS4_PKffii,"axG",@progbits,_ZN4vllm42fused_add_rms_norm_static_fp8_quant_kernelIfLi8EN3c1013Float8_e4m3fnEEENSt9enable_ifIXaagtT0_Li0Esr12_typeConvertIT_EE6existsEvE4typeEPT1_PS4_iS9_PKS4_PKffii,comdat
.Lfunc_end30:
	.size	_ZN4vllm42fused_add_rms_norm_static_fp8_quant_kernelIfLi8EN3c1013Float8_e4m3fnEEENSt9enable_ifIXaagtT0_Li0Esr12_typeConvertIT_EE6existsEvE4typeEPT1_PS4_iS9_PKS4_PKffii, .Lfunc_end30-_ZN4vllm42fused_add_rms_norm_static_fp8_quant_kernelIfLi8EN3c1013Float8_e4m3fnEEENSt9enable_ifIXaagtT0_Li0Esr12_typeConvertIT_EE6existsEvE4typeEPT1_PS4_iS9_PKS4_PKffii
                                        ; -- End function
	.section	.AMDGPU.csdata,"",@progbits
; Kernel info:
; codeLenInByte = 5340
; NumSgprs: 29
; NumVgprs: 37
; NumAgprs: 0
; TotalNumVgprs: 37
; ScratchSize: 0
; MemoryBound: 1
; FloatMode: 240
; IeeeMode: 1
; LDSByteSize: 68 bytes/workgroup (compile time only)
; SGPRBlocks: 3
; VGPRBlocks: 4
; NumSGPRsForWavesPerEU: 29
; NumVGPRsForWavesPerEU: 37
; AccumOffset: 40
; Occupancy: 8
; WaveLimiterHint : 0
; COMPUTE_PGM_RSRC2:SCRATCH_EN: 0
; COMPUTE_PGM_RSRC2:USER_SGPR: 6
; COMPUTE_PGM_RSRC2:TRAP_HANDLER: 0
; COMPUTE_PGM_RSRC2:TGID_X_EN: 1
; COMPUTE_PGM_RSRC2:TGID_Y_EN: 0
; COMPUTE_PGM_RSRC2:TGID_Z_EN: 0
; COMPUTE_PGM_RSRC2:TIDIG_COMP_CNT: 0
; COMPUTE_PGM_RSRC3_GFX90A:ACCUM_OFFSET: 9
; COMPUTE_PGM_RSRC3_GFX90A:TG_SPLIT: 0
	.section	.text._ZN4vllm42fused_add_rms_norm_static_fp8_quant_kernelIfLi8EN3c1015Float8_e4m3fnuzEEENSt9enable_ifIXaagtT0_Li0Esr12_typeConvertIT_EE6existsEvE4typeEPT1_PS4_iS9_PKS4_PKffii,"axG",@progbits,_ZN4vllm42fused_add_rms_norm_static_fp8_quant_kernelIfLi8EN3c1015Float8_e4m3fnuzEEENSt9enable_ifIXaagtT0_Li0Esr12_typeConvertIT_EE6existsEvE4typeEPT1_PS4_iS9_PKS4_PKffii,comdat
	.protected	_ZN4vllm42fused_add_rms_norm_static_fp8_quant_kernelIfLi8EN3c1015Float8_e4m3fnuzEEENSt9enable_ifIXaagtT0_Li0Esr12_typeConvertIT_EE6existsEvE4typeEPT1_PS4_iS9_PKS4_PKffii ; -- Begin function _ZN4vllm42fused_add_rms_norm_static_fp8_quant_kernelIfLi8EN3c1015Float8_e4m3fnuzEEENSt9enable_ifIXaagtT0_Li0Esr12_typeConvertIT_EE6existsEvE4typeEPT1_PS4_iS9_PKS4_PKffii
	.globl	_ZN4vllm42fused_add_rms_norm_static_fp8_quant_kernelIfLi8EN3c1015Float8_e4m3fnuzEEENSt9enable_ifIXaagtT0_Li0Esr12_typeConvertIT_EE6existsEvE4typeEPT1_PS4_iS9_PKS4_PKffii
	.p2align	8
	.type	_ZN4vllm42fused_add_rms_norm_static_fp8_quant_kernelIfLi8EN3c1015Float8_e4m3fnuzEEENSt9enable_ifIXaagtT0_Li0Esr12_typeConvertIT_EE6existsEvE4typeEPT1_PS4_iS9_PKS4_PKffii,@function
_ZN4vllm42fused_add_rms_norm_static_fp8_quant_kernelIfLi8EN3c1015Float8_e4m3fnuzEEENSt9enable_ifIXaagtT0_Li0Esr12_typeConvertIT_EE6existsEvE4typeEPT1_PS4_iS9_PKS4_PKffii: ; @_ZN4vllm42fused_add_rms_norm_static_fp8_quant_kernelIfLi8EN3c1015Float8_e4m3fnuzEEENSt9enable_ifIXaagtT0_Li0Esr12_typeConvertIT_EE6existsEvE4typeEPT1_PS4_iS9_PKS4_PKffii
; %bb.0:
	s_load_dword s22, s[4:5], 0x38
	s_load_dwordx2 s[12:13], s[4:5], 0x18
                                        ; implicit-def: $sgpr16
                                        ; implicit-def: $sgpr7
	s_waitcnt lgkmcnt(0)
	s_ashr_i32 s0, s22, 31
	s_lshr_b32 s0, s0, 29
	s_add_i32 s0, s22, s0
	s_ashr_i32 s20, s0, 3
	v_cmp_gt_i32_e64 s[0:1], s20, v0
	v_cmp_le_i32_e32 vcc, s20, v0
	s_and_saveexec_b64 s[2:3], vcc
	s_xor_b64 s[2:3], exec, s[2:3]
	s_cbranch_execz .LBB31_2
; %bb.1:
	s_load_dword s7, s[4:5], 0x4c
	s_mov_b32 s16, 0
	s_waitcnt lgkmcnt(0)
	s_and_b32 s7, s7, 0xffff
.LBB31_2:
	s_or_saveexec_b64 s[2:3], s[2:3]
	s_load_dwordx2 s[14:15], s[4:5], 0x0
	s_load_dwordx4 s[8:11], s[4:5], 0x20
	v_mov_b32_e32 v1, s16
	v_mov_b32_e32 v18, s7
	s_mul_i32 s21, s20, s6
	s_xor_b64 exec, exec, s[2:3]
	s_cbranch_execz .LBB31_6
; %bb.3:
	s_load_dword s23, s[4:5], 0x10
	s_load_dword s7, s[4:5], 0x4c
	s_load_dwordx2 s[16:17], s[4:5], 0x8
	s_mov_b64 s[18:19], 0
	v_mov_b32_e32 v1, 0
	s_waitcnt lgkmcnt(0)
	s_ashr_i32 s24, s23, 31
	s_lshr_b32 s24, s24, 29
	s_add_i32 s23, s23, s24
	s_ashr_i32 s23, s23, 3
	s_and_b32 s7, s7, 0xffff
	s_mul_i32 s6, s23, s6
	v_mov_b32_e32 v2, s17
	v_mov_b32_e32 v3, s13
	;; [unrolled: 1-line block ×3, first 2 shown]
.LBB31_4:                               ; =>This Inner Loop Header: Depth=1
	v_add_u32_e32 v6, s6, v4
	v_ashrrev_i32_e32 v7, 31, v6
	v_add_u32_e32 v8, s21, v4
	v_lshlrev_b64 v[6:7], 5, v[6:7]
	v_ashrrev_i32_e32 v9, 31, v8
	v_add_co_u32_e32 v22, vcc, s16, v6
	v_lshlrev_b64 v[8:9], 5, v[8:9]
	v_addc_co_u32_e32 v23, vcc, v2, v7, vcc
	v_add_co_u32_e32 v24, vcc, s12, v8
	v_addc_co_u32_e32 v25, vcc, v3, v9, vcc
	global_load_dwordx4 v[6:9], v[22:23], off
	global_load_dwordx4 v[10:13], v[24:25], off
	global_load_dwordx4 v[14:17], v[22:23], off offset:16
	global_load_dwordx4 v[18:21], v[24:25], off offset:16
	v_add_u32_e32 v4, s7, v4
	v_cmp_le_i32_e32 vcc, s20, v4
	s_or_b64 s[18:19], vcc, s[18:19]
	s_waitcnt vmcnt(3)
	v_mov_b32_e32 v23, v8
	s_waitcnt vmcnt(2)
	v_mov_b32_e32 v27, v12
	v_mov_b32_e32 v8, v7
	;; [unrolled: 1-line block ×5, first 2 shown]
	s_waitcnt vmcnt(1)
	v_mov_b32_e32 v7, v16
	s_waitcnt vmcnt(0)
	v_mov_b32_e32 v11, v20
	v_mov_b32_e32 v16, v15
	v_mov_b32_e32 v20, v19
	v_pk_add_f32 v[8:9], v[8:9], v[12:13]
	v_mov_b32_e32 v6, v14
	v_mov_b32_e32 v10, v18
	v_pk_add_f32 v[14:15], v[22:23], v[26:27]
	v_pk_add_f32 v[12:13], v[16:17], v[20:21]
	v_pk_mul_f32 v[16:17], v[8:9], v[8:9]
	v_pk_add_f32 v[18:19], v[6:7], v[10:11]
	v_pk_mul_f32 v[20:21], v[12:13], v[12:13]
	v_mov_b32_e32 v6, v14
	v_mov_b32_e32 v7, v8
	v_mov_b32_e32 v8, v15
	v_pk_fma_f32 v[14:15], v[14:15], v[14:15], v[16:17]
	v_pk_fma_f32 v[16:17], v[18:19], v[18:19], v[20:21]
	v_add_f32_e32 v5, v14, v15
	v_add_f32_e32 v5, v5, v16
	;; [unrolled: 1-line block ×4, first 2 shown]
	v_mov_b32_e32 v10, v18
	v_mov_b32_e32 v11, v12
	;; [unrolled: 1-line block ×3, first 2 shown]
	global_store_dwordx4 v[24:25], v[6:9], off
	global_store_dwordx4 v[24:25], v[10:13], off offset:16
	s_andn2_b64 exec, exec, s[18:19]
	s_cbranch_execnz .LBB31_4
; %bb.5:
	s_or_b64 exec, exec, s[18:19]
	v_mov_b32_e32 v18, s7
.LBB31_6:
	s_or_b64 exec, exec, s[2:3]
	v_mbcnt_lo_u32_b32 v2, -1, 0
	v_mbcnt_hi_u32_b32 v2, -1, v2
	v_and_b32_e32 v3, 63, v2
	v_cmp_ne_u32_e32 vcc, 63, v3
	v_addc_co_u32_e32 v4, vcc, 0, v2, vcc
	v_lshlrev_b32_e32 v4, 2, v4
	ds_bpermute_b32 v4, v4, v1
	v_and_b32_e32 v5, 0x3c0, v0
	v_sub_u32_e64 v5, v18, v5 clamp
	v_add_u32_e32 v6, 1, v2
	v_cmp_lt_u32_e32 vcc, v6, v5
	s_waitcnt lgkmcnt(0)
	v_add_f32_e32 v4, v1, v4
	v_cndmask_b32_e32 v1, v1, v4, vcc
	v_cmp_gt_u32_e32 vcc, 62, v3
	v_cndmask_b32_e64 v4, 0, 1, vcc
	v_lshlrev_b32_e32 v4, 1, v4
	v_add_lshl_u32 v4, v4, v2, 2
	ds_bpermute_b32 v4, v4, v1
	v_add_u32_e32 v6, 2, v2
	v_cmp_lt_u32_e32 vcc, v6, v5
	v_add_u32_e32 v6, 4, v2
	s_waitcnt lgkmcnt(0)
	v_add_f32_e32 v4, v1, v4
	v_cndmask_b32_e32 v1, v1, v4, vcc
	v_cmp_gt_u32_e32 vcc, 60, v3
	v_cndmask_b32_e64 v4, 0, 1, vcc
	v_lshlrev_b32_e32 v4, 2, v4
	v_add_lshl_u32 v4, v4, v2, 2
	ds_bpermute_b32 v4, v4, v1
	v_cmp_lt_u32_e32 vcc, v6, v5
	v_add_u32_e32 v6, 8, v2
	s_waitcnt lgkmcnt(0)
	v_add_f32_e32 v4, v1, v4
	v_cndmask_b32_e32 v1, v1, v4, vcc
	v_cmp_gt_u32_e32 vcc, 56, v3
	v_cndmask_b32_e64 v4, 0, 1, vcc
	v_lshlrev_b32_e32 v4, 3, v4
	v_add_lshl_u32 v4, v4, v2, 2
	ds_bpermute_b32 v4, v4, v1
	;; [unrolled: 10-line block ×3, first 2 shown]
	v_cmp_lt_u32_e32 vcc, v6, v5
	s_waitcnt lgkmcnt(0)
	v_add_f32_e32 v4, v1, v4
	v_cndmask_b32_e32 v1, v1, v4, vcc
	v_cmp_gt_u32_e32 vcc, 32, v3
	v_cndmask_b32_e64 v3, 0, 1, vcc
	v_lshlrev_b32_e32 v3, 5, v3
	v_add_lshl_u32 v3, v3, v2, 2
	ds_bpermute_b32 v3, v3, v1
	v_add_u32_e32 v4, 32, v2
	v_cmp_lt_u32_e32 vcc, v4, v5
	s_waitcnt lgkmcnt(0)
	v_add_f32_e32 v3, v1, v3
	v_cndmask_b32_e32 v1, v1, v3, vcc
	v_cmp_eq_u32_e32 vcc, 0, v2
	s_and_saveexec_b64 s[2:3], vcc
	s_cbranch_execz .LBB31_8
; %bb.7:
	v_lshrrev_b32_e32 v3, 4, v0
	v_and_b32_e32 v3, 60, v3
	ds_write_b32 v3, v1
.LBB31_8:
	s_or_b64 exec, exec, s[2:3]
	v_cmp_gt_u32_e32 vcc, 16, v0
	s_waitcnt lgkmcnt(0)
	s_barrier
	s_and_saveexec_b64 s[6:7], vcc
	s_cbranch_execz .LBB31_10
; %bb.9:
	v_lshlrev_b32_e32 v1, 2, v2
	ds_read_b32 v1, v1
	v_and_b32_e32 v3, 15, v2
	v_cmp_ne_u32_e32 vcc, 15, v3
	v_addc_co_u32_e32 v4, vcc, 0, v2, vcc
	v_lshlrev_b32_e32 v4, 2, v4
	s_waitcnt lgkmcnt(0)
	ds_bpermute_b32 v4, v4, v1
	v_add_u32_e32 v5, 63, v18
	v_lshrrev_b32_e32 v5, 6, v5
	v_add_u32_e32 v6, 1, v3
	v_cmp_gt_u32_e64 s[2:3], 14, v3
	v_cmp_lt_u32_e32 vcc, v6, v5
	v_cndmask_b32_e64 v6, 0, 1, s[2:3]
	s_waitcnt lgkmcnt(0)
	v_add_f32_e32 v4, v1, v4
	v_lshlrev_b32_e32 v6, 1, v6
	v_cndmask_b32_e32 v4, v1, v4, vcc
	v_add_lshl_u32 v6, v6, v2, 2
	ds_bpermute_b32 v6, v6, v4
	v_add_u32_e32 v7, 2, v3
	v_cmp_lt_u32_e64 s[2:3], v7, v5
	v_add_u32_e32 v7, 4, v3
	s_waitcnt lgkmcnt(0)
	v_add_f32_e32 v6, v4, v6
	v_cndmask_b32_e64 v4, v4, v6, s[2:3]
	v_cmp_gt_u32_e64 s[2:3], 12, v3
	v_cndmask_b32_e64 v6, 0, 1, s[2:3]
	v_lshlrev_b32_e32 v6, 2, v6
	v_add_lshl_u32 v6, v6, v2, 2
	ds_bpermute_b32 v6, v6, v4
	v_cmp_lt_u32_e64 s[2:3], v7, v5
	s_waitcnt lgkmcnt(0)
	v_add_f32_e32 v6, v4, v6
	v_cndmask_b32_e64 v4, v4, v6, s[2:3]
	v_cmp_gt_u32_e64 s[2:3], 8, v3
	v_cndmask_b32_e64 v6, 0, 1, s[2:3]
	v_lshlrev_b32_e32 v6, 3, v6
	v_add_lshl_u32 v2, v6, v2, 2
	ds_bpermute_b32 v2, v2, v4
	v_add_u32_e32 v3, 8, v3
	v_cmp_lt_u32_e64 s[2:3], v3, v5
	s_waitcnt lgkmcnt(0)
	v_add_f32_e32 v2, v4, v2
	v_cndmask_b32_e64 v2, v4, v2, s[2:3]
	v_cndmask_b32_e32 v1, v1, v2, vcc
.LBB31_10:
	s_or_b64 exec, exec, s[6:7]
	v_cmp_eq_u32_e32 vcc, 0, v0
	s_and_saveexec_b64 s[2:3], vcc
	s_cbranch_execz .LBB31_12
; %bb.11:
	v_cvt_f32_i32_e32 v2, s22
	s_load_dword s6, s[4:5], 0x30
	v_div_scale_f32 v3, s[4:5], v2, v2, v1
	v_rcp_f32_e32 v4, v3
	v_div_scale_f32 v5, vcc, v1, v2, v1
	s_mov_b32 s4, 0x800000
	v_fma_f32 v6, -v3, v4, 1.0
	v_fmac_f32_e32 v4, v6, v4
	v_mul_f32_e32 v6, v5, v4
	v_fma_f32 v7, -v3, v6, v5
	v_fmac_f32_e32 v6, v7, v4
	v_fma_f32 v3, -v3, v6, v5
	v_div_fmas_f32 v3, v3, v4, v6
	v_div_fixup_f32 v1, v3, v2, v1
	s_waitcnt lgkmcnt(0)
	v_add_f32_e32 v1, s6, v1
	v_mul_f32_e32 v2, 0x4b800000, v1
	v_cmp_gt_f32_e32 vcc, s4, v1
	v_cndmask_b32_e32 v1, v1, v2, vcc
	v_rsq_f32_e32 v1, v1
	v_mul_f32_e32 v2, 0x45800000, v1
	v_cndmask_b32_e32 v1, v1, v2, vcc
	v_mov_b32_e32 v2, 0
	ds_write_b32 v2, v1 offset:64
.LBB31_12:
	s_or_b64 exec, exec, s[2:3]
	s_waitcnt lgkmcnt(0)
	s_barrier
	s_and_saveexec_b64 s[2:3], s[0:1]
	s_cbranch_execz .LBB31_95
; %bb.13:
	s_load_dword s2, s[10:11], 0x0
	v_mov_b32_e32 v21, 0
	ds_read_b32 v28, v21 offset:64
	v_mov_b32_e32 v19, v21
	v_add_lshl_u32 v1, v0, s21, 3
	s_waitcnt lgkmcnt(0)
	v_div_scale_f32 v2, s[0:1], s2, s2, 1.0
	v_rcp_f32_e32 v3, v2
	v_div_scale_f32 v4, vcc, 1.0, s2, 1.0
	v_lshlrev_b32_e32 v30, 3, v18
	v_fma_f32 v5, -v2, v3, 1.0
	v_fmac_f32_e32 v3, v5, v3
	v_mul_f32_e32 v5, v4, v3
	v_fma_f32 v6, -v2, v5, v4
	v_fmac_f32_e32 v5, v6, v3
	v_fma_f32 v2, -v2, v5, v4
	v_div_fmas_f32 v2, v2, v3, v5
	v_div_fixup_f32 v29, v2, s2, 1.0
	v_lshlrev_b32_e32 v2, 5, v0
	v_mov_b32_e32 v3, s9
	v_add_co_u32_e32 v2, vcc, s8, v2
	v_addc_co_u32_e32 v3, vcc, 0, v3, vcc
	v_add_co_u32_e32 v22, vcc, 28, v2
	v_addc_co_u32_e32 v23, vcc, 0, v3, vcc
	v_lshlrev_b64 v[24:25], 5, v[18:19]
	s_mov_b64 s[2:3], 0
	v_mov_b32_e32 v19, s13
	s_movk_i32 s13, 0x7f
	s_mov_b64 s[4:5], 0x7f800000
	s_mov_b64 s[6:7], 0x43700001
	s_movk_i32 s18, 0x78
	s_movk_i32 s19, 0x80
	v_mov_b32_e32 v31, 0x77
	v_mov_b32_e32 v32, 0xffffff8a
	s_branch .LBB31_18
.LBB31_14:                              ;   in Loop: Header=BB31_18 Depth=1
	s_or_b64 exec, exec, s[0:1]
	v_lshrrev_b64 v[2:3], 20, v[2:3]
	v_cmp_gt_i32_e32 vcc, 16, v5
	v_and_b32_sdwa v4, v4, s19 dst_sel:DWORD dst_unused:UNUSED_PAD src0_sel:BYTE_3 src1_sel:DWORD
	v_min_i32_e32 v6, 15, v5
	v_cndmask_b32_e32 v3, 0, v3, vcc
	v_cndmask_b32_e32 v2, 7, v2, vcc
	v_cmp_eq_u32_e32 vcc, 0, v5
	v_cmp_eq_u64_e64 s[0:1], 0, v[2:3]
	v_lshl_or_b32 v3, v6, 3, v4
	v_and_or_b32 v2, v2, 7, v3
	s_and_b64 s[0:1], vcc, s[0:1]
	v_cndmask_b32_e64 v2, v2, 0, s[0:1]
.LBB31_15:                              ;   in Loop: Header=BB31_18 Depth=1
	s_or_b64 exec, exec, s[16:17]
.LBB31_16:                              ;   in Loop: Header=BB31_18 Depth=1
	s_andn2_saveexec_b64 s[0:1], s[10:11]
	s_or_b64 exec, exec, s[0:1]
.LBB31_17:                              ;   in Loop: Header=BB31_18 Depth=1
	s_andn2_saveexec_b64 s[0:1], s[8:9]
	s_or_b64 exec, exec, s[0:1]
	v_add_u32_e32 v0, v0, v18
	v_cmp_le_i32_e32 vcc, s20, v0
	s_or_b64 s[2:3], vcc, s[2:3]
	v_add_co_u32_e32 v22, vcc, v22, v24
	v_add_u32_e32 v1, v1, v30
	v_addc_co_u32_e32 v23, vcc, v23, v25, vcc
	global_store_byte v[26:27], v2, off offset:7
	s_andn2_b64 exec, exec, s[2:3]
	s_cbranch_execz .LBB31_95
.LBB31_18:                              ; =>This Inner Loop Header: Depth=1
	v_add_u32_e32 v2, s21, v0
	v_ashrrev_i32_e32 v3, 31, v2
	v_lshlrev_b64 v[2:3], 5, v[2:3]
	v_add_co_u32_e32 v26, vcc, s12, v2
	v_addc_co_u32_e32 v27, vcc, v19, v3, vcc
	global_load_dwordx4 v[10:13], v[26:27], off
	global_load_dwordx4 v[14:17], v[22:23], off offset:-28
	global_load_dwordx4 v[2:5], v[26:27], off offset:16
	global_load_dwordx4 v[6:9], v[22:23], off offset:-12
	s_waitcnt vmcnt(3)
	v_mul_f32_e32 v10, v10, v28
	s_waitcnt vmcnt(2)
	v_mul_f32_e32 v10, v10, v14
	v_mul_f32_e32 v10, v29, v10
	v_min_f32_e32 v10, 0x43600000, v10
	v_max_f32_e32 v10, 0xc3600000, v10
	v_and_b32_e32 v20, 0x7f800000, v10
	v_or_b32_sdwa v14, v10, s13 dst_sel:DWORD dst_unused:UNUSED_PAD src0_sel:BYTE_3 src1_sel:DWORD
	v_cmp_ne_u64_e32 vcc, s[4:5], v[20:21]
	s_and_saveexec_b64 s[0:1], vcc
	s_xor_b64 s[8:9], exec, s[0:1]
	s_cbranch_execz .LBB31_28
; %bb.19:                               ;   in Loop: Header=BB31_18 Depth=1
	v_and_b32_e32 v20, 0x7fffffff, v10
	v_cmp_gt_u64_e32 vcc, s[6:7], v[20:21]
	s_and_saveexec_b64 s[0:1], vcc
	s_xor_b64 s[10:11], exec, s[0:1]
	s_cbranch_execz .LBB31_27
; %bb.20:                               ;   in Loop: Header=BB31_18 Depth=1
	v_cmp_ne_u32_e32 vcc, 0, v10
	v_mov_b32_e32 v14, 0
	s_and_saveexec_b64 s[16:17], vcc
	s_cbranch_execz .LBB31_26
; %bb.21:                               ;   in Loop: Header=BB31_18 Depth=1
	v_bfe_u32 v20, v10, 23, 8
	v_and_b32_e32 v14, 0x7fffff, v10
	v_sub_u32_e64 v26, s18, v20 clamp
	v_cmp_eq_u32_e32 vcc, 0, v20
	v_or_b32_e32 v27, 0x800000, v14
	v_cndmask_b32_e32 v36, v26, v31, vcc
	v_add_u32_e32 v33, 0xffffff89, v20
	v_cndmask_b32_e32 v20, v27, v14, vcc
	v_add_u32_e32 v14, 20, v36
	v_lshlrev_b64 v[26:27], v14, -1
	v_not_b32_e32 v14, v26
	v_and_b32_e32 v26, v20, v14
	v_add_u32_e32 v14, 19, v36
	v_mov_b32_e32 v27, v21
	v_lshlrev_b64 v[34:35], v14, 1
	v_cmp_eq_u64_e64 s[0:1], v[26:27], v[34:35]
	v_lshrrev_b64 v[26:27], v36, v[20:21]
	v_cndmask_b32_e32 v14, v33, v32, vcc
	v_lshrrev_b32_e32 v20, 23, v26
	v_add3_u32 v33, v14, v36, v20
	v_and_b32_e32 v20, 0x100000, v26
	v_cmp_eq_u64_e32 vcc, 0, v[20:21]
	s_and_b64 vcc, vcc, s[0:1]
	v_subbrev_co_u32_e32 v14, vcc, 0, v26, vcc
	v_and_b32_e32 v14, 0xfffff, v14
	v_add_co_u32_e32 v26, vcc, v14, v26
	v_add_u32_e32 v34, -1, v33
	v_addc_co_u32_e32 v27, vcc, 0, v27, vcc
	v_cmp_ne_u32_e32 vcc, 0, v34
                                        ; implicit-def: $vgpr14
	s_and_saveexec_b64 s[0:1], vcc
	s_xor_b64 s[0:1], exec, s[0:1]
; %bb.22:                               ;   in Loop: Header=BB31_18 Depth=1
	v_and_b32_e32 v20, 0x1000000, v26
	v_cmp_eq_u64_e32 vcc, 0, v[20:21]
	v_bfe_u32 v20, v26, 24, 1
	v_cndmask_b32_e32 v14, v33, v34, vcc
	v_lshrrev_b64 v[26:27], v20, v[26:27]
; %bb.23:                               ;   in Loop: Header=BB31_18 Depth=1
	s_andn2_saveexec_b64 s[0:1], s[0:1]
; %bb.24:                               ;   in Loop: Header=BB31_18 Depth=1
	v_bfe_u32 v14, v26, 23, 1
; %bb.25:                               ;   in Loop: Header=BB31_18 Depth=1
	s_or_b64 exec, exec, s[0:1]
	v_lshrrev_b64 v[26:27], 20, v[26:27]
	v_cmp_gt_i32_e32 vcc, 16, v14
	v_and_b32_sdwa v10, v10, s19 dst_sel:DWORD dst_unused:UNUSED_PAD src0_sel:BYTE_3 src1_sel:DWORD
	v_min_i32_e32 v20, 15, v14
	v_cndmask_b32_e32 v27, 0, v27, vcc
	v_cndmask_b32_e32 v26, 7, v26, vcc
	v_cmp_eq_u32_e32 vcc, 0, v14
	v_cmp_eq_u64_e64 s[0:1], 0, v[26:27]
	v_lshl_or_b32 v10, v20, 3, v10
	v_and_or_b32 v10, v26, 7, v10
	s_and_b64 s[0:1], vcc, s[0:1]
	v_cndmask_b32_e64 v14, v10, 0, s[0:1]
.LBB31_26:                              ;   in Loop: Header=BB31_18 Depth=1
	s_or_b64 exec, exec, s[16:17]
.LBB31_27:                              ;   in Loop: Header=BB31_18 Depth=1
	s_andn2_saveexec_b64 s[0:1], s[10:11]
	s_or_b64 exec, exec, s[0:1]
.LBB31_28:                              ;   in Loop: Header=BB31_18 Depth=1
	s_andn2_saveexec_b64 s[0:1], s[8:9]
	s_or_b64 exec, exec, s[0:1]
	v_ashrrev_i32_e32 v10, 31, v1
	v_mov_b32_e32 v20, s15
	v_add_co_u32_e32 v26, vcc, s14, v1
	v_addc_co_u32_e32 v27, vcc, v20, v10, vcc
	v_mul_f32_e32 v10, v11, v28
	v_mul_f32_e32 v10, v10, v15
	;; [unrolled: 1-line block ×3, first 2 shown]
	v_min_f32_e32 v10, 0x43600000, v10
	global_store_byte v[26:27], v14, off
	v_max_f32_e32 v14, 0xc3600000, v10
	v_and_b32_e32 v20, 0x7f800000, v14
	v_or_b32_sdwa v10, v14, s13 dst_sel:DWORD dst_unused:UNUSED_PAD src0_sel:BYTE_3 src1_sel:DWORD
	v_cmp_ne_u64_e32 vcc, s[4:5], v[20:21]
	s_and_saveexec_b64 s[0:1], vcc
	s_xor_b64 s[8:9], exec, s[0:1]
	s_cbranch_execz .LBB31_38
; %bb.29:                               ;   in Loop: Header=BB31_18 Depth=1
	v_and_b32_e32 v20, 0x7fffffff, v14
	v_cmp_gt_u64_e32 vcc, s[6:7], v[20:21]
	s_and_saveexec_b64 s[0:1], vcc
	s_xor_b64 s[10:11], exec, s[0:1]
	s_cbranch_execz .LBB31_37
; %bb.30:                               ;   in Loop: Header=BB31_18 Depth=1
	v_cmp_ne_u32_e32 vcc, 0, v14
	v_mov_b32_e32 v10, 0
	s_and_saveexec_b64 s[16:17], vcc
	s_cbranch_execz .LBB31_36
; %bb.31:                               ;   in Loop: Header=BB31_18 Depth=1
	v_bfe_u32 v11, v14, 23, 8
	v_and_b32_e32 v10, 0x7fffff, v14
	v_sub_u32_e64 v15, s18, v11 clamp
	v_cmp_eq_u32_e32 vcc, 0, v11
	v_or_b32_e32 v20, 0x800000, v10
	v_cndmask_b32_e32 v15, v15, v31, vcc
	v_cndmask_b32_e32 v20, v20, v10, vcc
	v_add_u32_e32 v10, 20, v15
	v_add_u32_e32 v33, 0xffffff89, v11
	v_lshlrev_b64 v[10:11], v10, -1
	v_not_b32_e32 v10, v10
	v_add_u32_e32 v34, 19, v15
	v_and_b32_e32 v10, v20, v10
	v_mov_b32_e32 v11, v21
	v_lshlrev_b64 v[34:35], v34, 1
	v_cmp_eq_u64_e64 s[0:1], v[10:11], v[34:35]
	v_lshrrev_b64 v[10:11], v15, v[20:21]
	v_cndmask_b32_e32 v20, v33, v32, vcc
	v_lshrrev_b32_e32 v33, 23, v10
	v_add3_u32 v33, v20, v15, v33
	v_and_b32_e32 v20, 0x100000, v10
	v_cmp_eq_u64_e32 vcc, 0, v[20:21]
	s_and_b64 vcc, vcc, s[0:1]
	v_subbrev_co_u32_e32 v15, vcc, 0, v10, vcc
	v_and_b32_e32 v15, 0xfffff, v15
	v_add_co_u32_e32 v10, vcc, v15, v10
	v_add_u32_e32 v34, -1, v33
	v_addc_co_u32_e32 v11, vcc, 0, v11, vcc
	v_cmp_ne_u32_e32 vcc, 0, v34
                                        ; implicit-def: $vgpr15
	s_and_saveexec_b64 s[0:1], vcc
	s_xor_b64 s[0:1], exec, s[0:1]
; %bb.32:                               ;   in Loop: Header=BB31_18 Depth=1
	v_and_b32_e32 v20, 0x1000000, v10
	v_cmp_eq_u64_e32 vcc, 0, v[20:21]
	v_bfe_u32 v20, v10, 24, 1
	v_cndmask_b32_e32 v15, v33, v34, vcc
	v_lshrrev_b64 v[10:11], v20, v[10:11]
; %bb.33:                               ;   in Loop: Header=BB31_18 Depth=1
	s_andn2_saveexec_b64 s[0:1], s[0:1]
; %bb.34:                               ;   in Loop: Header=BB31_18 Depth=1
	v_bfe_u32 v15, v10, 23, 1
; %bb.35:                               ;   in Loop: Header=BB31_18 Depth=1
	s_or_b64 exec, exec, s[0:1]
	v_lshrrev_b64 v[10:11], 20, v[10:11]
	v_cmp_gt_i32_e32 vcc, 16, v15
	v_and_b32_sdwa v14, v14, s19 dst_sel:DWORD dst_unused:UNUSED_PAD src0_sel:BYTE_3 src1_sel:DWORD
	v_min_i32_e32 v20, 15, v15
	v_cndmask_b32_e32 v11, 0, v11, vcc
	v_cndmask_b32_e32 v10, 7, v10, vcc
	v_cmp_eq_u32_e32 vcc, 0, v15
	v_cmp_eq_u64_e64 s[0:1], 0, v[10:11]
	v_lshl_or_b32 v11, v20, 3, v14
	v_and_or_b32 v10, v10, 7, v11
	s_and_b64 s[0:1], vcc, s[0:1]
	v_cndmask_b32_e64 v10, v10, 0, s[0:1]
.LBB31_36:                              ;   in Loop: Header=BB31_18 Depth=1
	s_or_b64 exec, exec, s[16:17]
.LBB31_37:                              ;   in Loop: Header=BB31_18 Depth=1
	s_andn2_saveexec_b64 s[0:1], s[10:11]
	s_or_b64 exec, exec, s[0:1]
.LBB31_38:                              ;   in Loop: Header=BB31_18 Depth=1
	s_andn2_saveexec_b64 s[0:1], s[8:9]
	s_or_b64 exec, exec, s[0:1]
	global_store_byte v[26:27], v10, off offset:1
	v_mul_f32_e32 v10, v12, v28
	v_mul_f32_e32 v10, v10, v16
	v_mul_f32_e32 v10, v29, v10
	v_min_f32_e32 v10, 0x43600000, v10
	v_max_f32_e32 v12, 0xc3600000, v10
	v_and_b32_e32 v20, 0x7f800000, v12
	v_or_b32_sdwa v10, v12, s13 dst_sel:DWORD dst_unused:UNUSED_PAD src0_sel:BYTE_3 src1_sel:DWORD
	v_cmp_ne_u64_e32 vcc, s[4:5], v[20:21]
	s_and_saveexec_b64 s[0:1], vcc
	s_xor_b64 s[8:9], exec, s[0:1]
	s_cbranch_execz .LBB31_48
; %bb.39:                               ;   in Loop: Header=BB31_18 Depth=1
	v_and_b32_e32 v20, 0x7fffffff, v12
	v_cmp_gt_u64_e32 vcc, s[6:7], v[20:21]
	s_and_saveexec_b64 s[0:1], vcc
	s_xor_b64 s[10:11], exec, s[0:1]
	s_cbranch_execz .LBB31_47
; %bb.40:                               ;   in Loop: Header=BB31_18 Depth=1
	v_cmp_ne_u32_e32 vcc, 0, v12
	v_mov_b32_e32 v10, 0
	s_and_saveexec_b64 s[16:17], vcc
	s_cbranch_execz .LBB31_46
; %bb.41:                               ;   in Loop: Header=BB31_18 Depth=1
	v_bfe_u32 v11, v12, 23, 8
	v_and_b32_e32 v10, 0x7fffff, v12
	v_sub_u32_e64 v14, s18, v11 clamp
	v_cmp_eq_u32_e32 vcc, 0, v11
	v_or_b32_e32 v15, 0x800000, v10
	v_cndmask_b32_e32 v33, v14, v31, vcc
	v_cndmask_b32_e32 v20, v15, v10, vcc
	v_add_u32_e32 v10, 20, v33
	v_add_u32_e32 v16, 0xffffff89, v11
	v_lshlrev_b64 v[10:11], v10, -1
	v_not_b32_e32 v10, v10
	v_add_u32_e32 v14, 19, v33
	v_and_b32_e32 v10, v20, v10
	v_mov_b32_e32 v11, v21
	v_lshlrev_b64 v[14:15], v14, 1
	v_cmp_eq_u64_e64 s[0:1], v[10:11], v[14:15]
	v_lshrrev_b64 v[10:11], v33, v[20:21]
	v_and_b32_e32 v20, 0x100000, v10
	v_cndmask_b32_e32 v14, v16, v32, vcc
	v_cmp_eq_u64_e32 vcc, 0, v[20:21]
	v_lshrrev_b32_e32 v15, 23, v10
	s_and_b64 vcc, vcc, s[0:1]
	v_add3_u32 v15, v14, v33, v15
	v_subbrev_co_u32_e32 v14, vcc, 0, v10, vcc
	v_and_b32_e32 v14, 0xfffff, v14
	v_add_co_u32_e32 v10, vcc, v14, v10
	v_add_u32_e32 v16, -1, v15
	v_addc_co_u32_e32 v11, vcc, 0, v11, vcc
	v_cmp_ne_u32_e32 vcc, 0, v16
                                        ; implicit-def: $vgpr14
	s_and_saveexec_b64 s[0:1], vcc
	s_xor_b64 s[0:1], exec, s[0:1]
; %bb.42:                               ;   in Loop: Header=BB31_18 Depth=1
	v_and_b32_e32 v20, 0x1000000, v10
	v_cmp_eq_u64_e32 vcc, 0, v[20:21]
	v_cndmask_b32_e32 v14, v15, v16, vcc
	v_bfe_u32 v15, v10, 24, 1
	v_lshrrev_b64 v[10:11], v15, v[10:11]
; %bb.43:                               ;   in Loop: Header=BB31_18 Depth=1
	s_andn2_saveexec_b64 s[0:1], s[0:1]
; %bb.44:                               ;   in Loop: Header=BB31_18 Depth=1
	v_bfe_u32 v14, v10, 23, 1
; %bb.45:                               ;   in Loop: Header=BB31_18 Depth=1
	s_or_b64 exec, exec, s[0:1]
	v_lshrrev_b64 v[10:11], 20, v[10:11]
	v_cmp_gt_i32_e32 vcc, 16, v14
	v_and_b32_sdwa v12, v12, s19 dst_sel:DWORD dst_unused:UNUSED_PAD src0_sel:BYTE_3 src1_sel:DWORD
	v_min_i32_e32 v15, 15, v14
	v_cndmask_b32_e32 v11, 0, v11, vcc
	v_cndmask_b32_e32 v10, 7, v10, vcc
	v_cmp_eq_u32_e32 vcc, 0, v14
	v_cmp_eq_u64_e64 s[0:1], 0, v[10:11]
	v_lshl_or_b32 v11, v15, 3, v12
	v_and_or_b32 v10, v10, 7, v11
	s_and_b64 s[0:1], vcc, s[0:1]
	v_cndmask_b32_e64 v10, v10, 0, s[0:1]
.LBB31_46:                              ;   in Loop: Header=BB31_18 Depth=1
	s_or_b64 exec, exec, s[16:17]
.LBB31_47:                              ;   in Loop: Header=BB31_18 Depth=1
	s_andn2_saveexec_b64 s[0:1], s[10:11]
	s_or_b64 exec, exec, s[0:1]
.LBB31_48:                              ;   in Loop: Header=BB31_18 Depth=1
	s_andn2_saveexec_b64 s[0:1], s[8:9]
	s_or_b64 exec, exec, s[0:1]
	global_store_byte v[26:27], v10, off offset:2
	v_mul_f32_e32 v10, v13, v28
	v_mul_f32_e32 v10, v10, v17
	;; [unrolled: 1-line block ×3, first 2 shown]
	v_min_f32_e32 v10, 0x43600000, v10
	v_max_f32_e32 v12, 0xc3600000, v10
	v_and_b32_e32 v20, 0x7f800000, v12
	v_or_b32_sdwa v10, v12, s13 dst_sel:DWORD dst_unused:UNUSED_PAD src0_sel:BYTE_3 src1_sel:DWORD
	v_cmp_ne_u64_e32 vcc, s[4:5], v[20:21]
	s_and_saveexec_b64 s[0:1], vcc
	s_xor_b64 s[8:9], exec, s[0:1]
	s_cbranch_execz .LBB31_58
; %bb.49:                               ;   in Loop: Header=BB31_18 Depth=1
	v_and_b32_e32 v20, 0x7fffffff, v12
	v_cmp_gt_u64_e32 vcc, s[6:7], v[20:21]
	s_and_saveexec_b64 s[0:1], vcc
	s_xor_b64 s[10:11], exec, s[0:1]
	s_cbranch_execz .LBB31_57
; %bb.50:                               ;   in Loop: Header=BB31_18 Depth=1
	v_cmp_ne_u32_e32 vcc, 0, v12
	v_mov_b32_e32 v10, 0
	s_and_saveexec_b64 s[16:17], vcc
	s_cbranch_execz .LBB31_56
; %bb.51:                               ;   in Loop: Header=BB31_18 Depth=1
	v_bfe_u32 v11, v12, 23, 8
	v_and_b32_e32 v10, 0x7fffff, v12
	v_sub_u32_e64 v13, s18, v11 clamp
	v_cmp_eq_u32_e32 vcc, 0, v11
	v_or_b32_e32 v14, 0x800000, v10
	v_cndmask_b32_e32 v13, v13, v31, vcc
	v_cndmask_b32_e32 v20, v14, v10, vcc
	v_add_u32_e32 v10, 20, v13
	v_add_u32_e32 v16, 0xffffff89, v11
	v_lshlrev_b64 v[10:11], v10, -1
	v_not_b32_e32 v10, v10
	v_add_u32_e32 v14, 19, v13
	v_and_b32_e32 v10, v20, v10
	v_mov_b32_e32 v11, v21
	v_lshlrev_b64 v[14:15], v14, 1
	v_cmp_eq_u64_e64 s[0:1], v[10:11], v[14:15]
	v_lshrrev_b64 v[10:11], v13, v[20:21]
	v_and_b32_e32 v20, 0x100000, v10
	v_cndmask_b32_e32 v14, v16, v32, vcc
	v_cmp_eq_u64_e32 vcc, 0, v[20:21]
	v_lshrrev_b32_e32 v15, 23, v10
	s_and_b64 vcc, vcc, s[0:1]
	v_add3_u32 v14, v14, v13, v15
	v_subbrev_co_u32_e32 v13, vcc, 0, v10, vcc
	v_and_b32_e32 v13, 0xfffff, v13
	v_add_co_u32_e32 v10, vcc, v13, v10
	v_add_u32_e32 v15, -1, v14
	v_addc_co_u32_e32 v11, vcc, 0, v11, vcc
	v_cmp_ne_u32_e32 vcc, 0, v15
                                        ; implicit-def: $vgpr13
	s_and_saveexec_b64 s[0:1], vcc
	s_xor_b64 s[0:1], exec, s[0:1]
; %bb.52:                               ;   in Loop: Header=BB31_18 Depth=1
	v_and_b32_e32 v20, 0x1000000, v10
	v_cmp_eq_u64_e32 vcc, 0, v[20:21]
	v_cndmask_b32_e32 v13, v14, v15, vcc
	v_bfe_u32 v14, v10, 24, 1
	v_lshrrev_b64 v[10:11], v14, v[10:11]
; %bb.53:                               ;   in Loop: Header=BB31_18 Depth=1
	s_andn2_saveexec_b64 s[0:1], s[0:1]
; %bb.54:                               ;   in Loop: Header=BB31_18 Depth=1
	v_bfe_u32 v13, v10, 23, 1
; %bb.55:                               ;   in Loop: Header=BB31_18 Depth=1
	s_or_b64 exec, exec, s[0:1]
	v_lshrrev_b64 v[10:11], 20, v[10:11]
	v_cmp_gt_i32_e32 vcc, 16, v13
	v_and_b32_sdwa v12, v12, s19 dst_sel:DWORD dst_unused:UNUSED_PAD src0_sel:BYTE_3 src1_sel:DWORD
	v_min_i32_e32 v14, 15, v13
	v_cndmask_b32_e32 v11, 0, v11, vcc
	v_cndmask_b32_e32 v10, 7, v10, vcc
	v_cmp_eq_u32_e32 vcc, 0, v13
	v_cmp_eq_u64_e64 s[0:1], 0, v[10:11]
	v_lshl_or_b32 v11, v14, 3, v12
	v_and_or_b32 v10, v10, 7, v11
	s_and_b64 s[0:1], vcc, s[0:1]
	v_cndmask_b32_e64 v10, v10, 0, s[0:1]
.LBB31_56:                              ;   in Loop: Header=BB31_18 Depth=1
	s_or_b64 exec, exec, s[16:17]
.LBB31_57:                              ;   in Loop: Header=BB31_18 Depth=1
	s_andn2_saveexec_b64 s[0:1], s[10:11]
	s_or_b64 exec, exec, s[0:1]
.LBB31_58:                              ;   in Loop: Header=BB31_18 Depth=1
	s_andn2_saveexec_b64 s[0:1], s[8:9]
	s_or_b64 exec, exec, s[0:1]
	s_waitcnt vmcnt(4)
	v_mul_f32_e32 v2, v2, v28
	s_waitcnt vmcnt(3)
	v_mul_f32_e32 v2, v2, v6
	v_mul_f32_e32 v2, v29, v2
	v_min_f32_e32 v2, 0x43600000, v2
	v_max_f32_e32 v2, 0xc3600000, v2
	v_and_b32_e32 v20, 0x7f800000, v2
	v_or_b32_sdwa v6, v2, s13 dst_sel:DWORD dst_unused:UNUSED_PAD src0_sel:BYTE_3 src1_sel:DWORD
	v_cmp_ne_u64_e32 vcc, s[4:5], v[20:21]
	global_store_byte v[26:27], v10, off offset:3
	s_and_saveexec_b64 s[0:1], vcc
	s_xor_b64 s[8:9], exec, s[0:1]
	s_cbranch_execz .LBB31_68
; %bb.59:                               ;   in Loop: Header=BB31_18 Depth=1
	v_and_b32_e32 v20, 0x7fffffff, v2
	v_cmp_gt_u64_e32 vcc, s[6:7], v[20:21]
	s_and_saveexec_b64 s[0:1], vcc
	s_xor_b64 s[10:11], exec, s[0:1]
	s_cbranch_execz .LBB31_67
; %bb.60:                               ;   in Loop: Header=BB31_18 Depth=1
	v_cmp_ne_u32_e32 vcc, 0, v2
	v_mov_b32_e32 v6, 0
	s_and_saveexec_b64 s[16:17], vcc
	s_cbranch_execz .LBB31_66
; %bb.61:                               ;   in Loop: Header=BB31_18 Depth=1
	v_bfe_u32 v10, v2, 23, 8
	v_and_b32_e32 v6, 0x7fffff, v2
	v_sub_u32_e64 v11, s18, v10 clamp
	v_cmp_eq_u32_e32 vcc, 0, v10
	v_or_b32_e32 v12, 0x800000, v6
	v_cndmask_b32_e32 v15, v11, v31, vcc
	v_cndmask_b32_e32 v20, v12, v6, vcc
	v_add_u32_e32 v6, 20, v15
	v_add_u32_e32 v14, 0xffffff89, v10
	v_lshlrev_b64 v[10:11], v6, -1
	v_not_b32_e32 v6, v10
	v_and_b32_e32 v10, v20, v6
	v_add_u32_e32 v6, 19, v15
	v_mov_b32_e32 v11, v21
	v_lshlrev_b64 v[12:13], v6, 1
	v_cmp_eq_u64_e64 s[0:1], v[10:11], v[12:13]
	v_lshrrev_b64 v[10:11], v15, v[20:21]
	v_and_b32_e32 v20, 0x100000, v10
	v_cndmask_b32_e32 v6, v14, v32, vcc
	v_cmp_eq_u64_e32 vcc, 0, v[20:21]
	v_lshrrev_b32_e32 v12, 23, v10
	s_and_b64 vcc, vcc, s[0:1]
	v_add3_u32 v12, v6, v15, v12
	v_subbrev_co_u32_e32 v6, vcc, 0, v10, vcc
	v_and_b32_e32 v6, 0xfffff, v6
	v_add_co_u32_e32 v10, vcc, v6, v10
	v_add_u32_e32 v13, -1, v12
	v_addc_co_u32_e32 v11, vcc, 0, v11, vcc
	v_cmp_ne_u32_e32 vcc, 0, v13
                                        ; implicit-def: $vgpr6
	s_and_saveexec_b64 s[0:1], vcc
	s_xor_b64 s[0:1], exec, s[0:1]
; %bb.62:                               ;   in Loop: Header=BB31_18 Depth=1
	v_and_b32_e32 v20, 0x1000000, v10
	v_cmp_eq_u64_e32 vcc, 0, v[20:21]
	v_cndmask_b32_e32 v6, v12, v13, vcc
	v_bfe_u32 v12, v10, 24, 1
	v_lshrrev_b64 v[10:11], v12, v[10:11]
; %bb.63:                               ;   in Loop: Header=BB31_18 Depth=1
	s_andn2_saveexec_b64 s[0:1], s[0:1]
; %bb.64:                               ;   in Loop: Header=BB31_18 Depth=1
	v_bfe_u32 v6, v10, 23, 1
; %bb.65:                               ;   in Loop: Header=BB31_18 Depth=1
	s_or_b64 exec, exec, s[0:1]
	v_lshrrev_b64 v[10:11], 20, v[10:11]
	v_cmp_gt_i32_e32 vcc, 16, v6
	v_and_b32_sdwa v2, v2, s19 dst_sel:DWORD dst_unused:UNUSED_PAD src0_sel:BYTE_3 src1_sel:DWORD
	v_min_i32_e32 v12, 15, v6
	v_cndmask_b32_e32 v11, 0, v11, vcc
	v_cndmask_b32_e32 v10, 7, v10, vcc
	v_cmp_eq_u32_e32 vcc, 0, v6
	v_cmp_eq_u64_e64 s[0:1], 0, v[10:11]
	v_lshl_or_b32 v2, v12, 3, v2
	v_and_or_b32 v2, v10, 7, v2
	s_and_b64 s[0:1], vcc, s[0:1]
	v_cndmask_b32_e64 v6, v2, 0, s[0:1]
.LBB31_66:                              ;   in Loop: Header=BB31_18 Depth=1
	s_or_b64 exec, exec, s[16:17]
.LBB31_67:                              ;   in Loop: Header=BB31_18 Depth=1
	s_andn2_saveexec_b64 s[0:1], s[10:11]
	s_or_b64 exec, exec, s[0:1]
.LBB31_68:                              ;   in Loop: Header=BB31_18 Depth=1
	s_andn2_saveexec_b64 s[0:1], s[8:9]
	s_or_b64 exec, exec, s[0:1]
	v_mul_f32_e32 v2, v3, v28
	v_mul_f32_e32 v2, v2, v7
	;; [unrolled: 1-line block ×3, first 2 shown]
	v_min_f32_e32 v2, 0x43600000, v2
	global_store_byte v[26:27], v6, off offset:4
	v_max_f32_e32 v6, 0xc3600000, v2
	v_and_b32_e32 v20, 0x7f800000, v6
	v_or_b32_sdwa v2, v6, s13 dst_sel:DWORD dst_unused:UNUSED_PAD src0_sel:BYTE_3 src1_sel:DWORD
	v_cmp_ne_u64_e32 vcc, s[4:5], v[20:21]
	s_and_saveexec_b64 s[0:1], vcc
	s_xor_b64 s[8:9], exec, s[0:1]
	s_cbranch_execz .LBB31_78
; %bb.69:                               ;   in Loop: Header=BB31_18 Depth=1
	v_and_b32_e32 v20, 0x7fffffff, v6
	v_cmp_gt_u64_e32 vcc, s[6:7], v[20:21]
	s_and_saveexec_b64 s[0:1], vcc
	s_xor_b64 s[10:11], exec, s[0:1]
	s_cbranch_execz .LBB31_77
; %bb.70:                               ;   in Loop: Header=BB31_18 Depth=1
	v_cmp_ne_u32_e32 vcc, 0, v6
	v_mov_b32_e32 v2, 0
	s_and_saveexec_b64 s[16:17], vcc
	s_cbranch_execz .LBB31_76
; %bb.71:                               ;   in Loop: Header=BB31_18 Depth=1
	v_bfe_u32 v3, v6, 23, 8
	v_and_b32_e32 v2, 0x7fffff, v6
	v_sub_u32_e64 v7, s18, v3 clamp
	v_cmp_eq_u32_e32 vcc, 0, v3
	v_or_b32_e32 v10, 0x800000, v2
	v_cndmask_b32_e32 v7, v7, v31, vcc
	v_cndmask_b32_e32 v20, v10, v2, vcc
	v_add_u32_e32 v2, 20, v7
	v_add_u32_e32 v12, 0xffffff89, v3
	v_lshlrev_b64 v[2:3], v2, -1
	v_not_b32_e32 v2, v2
	v_add_u32_e32 v10, 19, v7
	v_and_b32_e32 v2, v20, v2
	v_mov_b32_e32 v3, v21
	v_lshlrev_b64 v[10:11], v10, 1
	v_cmp_eq_u64_e64 s[0:1], v[2:3], v[10:11]
	v_lshrrev_b64 v[2:3], v7, v[20:21]
	v_and_b32_e32 v20, 0x100000, v2
	v_cndmask_b32_e32 v10, v12, v32, vcc
	v_cmp_eq_u64_e32 vcc, 0, v[20:21]
	v_lshrrev_b32_e32 v11, 23, v2
	s_and_b64 vcc, vcc, s[0:1]
	v_add3_u32 v10, v10, v7, v11
	v_subbrev_co_u32_e32 v7, vcc, 0, v2, vcc
	v_and_b32_e32 v7, 0xfffff, v7
	v_add_co_u32_e32 v2, vcc, v7, v2
	v_add_u32_e32 v11, -1, v10
	v_addc_co_u32_e32 v3, vcc, 0, v3, vcc
	v_cmp_ne_u32_e32 vcc, 0, v11
                                        ; implicit-def: $vgpr7
	s_and_saveexec_b64 s[0:1], vcc
	s_xor_b64 s[0:1], exec, s[0:1]
; %bb.72:                               ;   in Loop: Header=BB31_18 Depth=1
	v_and_b32_e32 v20, 0x1000000, v2
	v_cmp_eq_u64_e32 vcc, 0, v[20:21]
	v_cndmask_b32_e32 v7, v10, v11, vcc
	v_bfe_u32 v10, v2, 24, 1
	v_lshrrev_b64 v[2:3], v10, v[2:3]
; %bb.73:                               ;   in Loop: Header=BB31_18 Depth=1
	s_andn2_saveexec_b64 s[0:1], s[0:1]
; %bb.74:                               ;   in Loop: Header=BB31_18 Depth=1
	v_bfe_u32 v7, v2, 23, 1
; %bb.75:                               ;   in Loop: Header=BB31_18 Depth=1
	s_or_b64 exec, exec, s[0:1]
	v_lshrrev_b64 v[2:3], 20, v[2:3]
	v_cmp_gt_i32_e32 vcc, 16, v7
	v_and_b32_sdwa v6, v6, s19 dst_sel:DWORD dst_unused:UNUSED_PAD src0_sel:BYTE_3 src1_sel:DWORD
	v_min_i32_e32 v10, 15, v7
	v_cndmask_b32_e32 v3, 0, v3, vcc
	v_cndmask_b32_e32 v2, 7, v2, vcc
	v_cmp_eq_u32_e32 vcc, 0, v7
	v_cmp_eq_u64_e64 s[0:1], 0, v[2:3]
	v_lshl_or_b32 v3, v10, 3, v6
	v_and_or_b32 v2, v2, 7, v3
	s_and_b64 s[0:1], vcc, s[0:1]
	v_cndmask_b32_e64 v2, v2, 0, s[0:1]
.LBB31_76:                              ;   in Loop: Header=BB31_18 Depth=1
	s_or_b64 exec, exec, s[16:17]
.LBB31_77:                              ;   in Loop: Header=BB31_18 Depth=1
	s_andn2_saveexec_b64 s[0:1], s[10:11]
	s_or_b64 exec, exec, s[0:1]
.LBB31_78:                              ;   in Loop: Header=BB31_18 Depth=1
	s_andn2_saveexec_b64 s[0:1], s[8:9]
	s_or_b64 exec, exec, s[0:1]
	global_store_byte v[26:27], v2, off offset:5
	v_mul_f32_e32 v2, v4, v28
	v_mul_f32_e32 v2, v2, v8
	;; [unrolled: 1-line block ×3, first 2 shown]
	v_min_f32_e32 v2, 0x43600000, v2
	v_max_f32_e32 v4, 0xc3600000, v2
	v_and_b32_e32 v20, 0x7f800000, v4
	v_or_b32_sdwa v2, v4, s13 dst_sel:DWORD dst_unused:UNUSED_PAD src0_sel:BYTE_3 src1_sel:DWORD
	v_cmp_ne_u64_e32 vcc, s[4:5], v[20:21]
	s_and_saveexec_b64 s[0:1], vcc
	s_xor_b64 s[8:9], exec, s[0:1]
	s_cbranch_execz .LBB31_88
; %bb.79:                               ;   in Loop: Header=BB31_18 Depth=1
	v_and_b32_e32 v20, 0x7fffffff, v4
	v_cmp_gt_u64_e32 vcc, s[6:7], v[20:21]
	s_and_saveexec_b64 s[0:1], vcc
	s_xor_b64 s[10:11], exec, s[0:1]
	s_cbranch_execz .LBB31_87
; %bb.80:                               ;   in Loop: Header=BB31_18 Depth=1
	v_cmp_ne_u32_e32 vcc, 0, v4
	v_mov_b32_e32 v2, 0
	s_and_saveexec_b64 s[16:17], vcc
	s_cbranch_execz .LBB31_86
; %bb.81:                               ;   in Loop: Header=BB31_18 Depth=1
	v_bfe_u32 v3, v4, 23, 8
	v_and_b32_e32 v2, 0x7fffff, v4
	v_sub_u32_e64 v6, s18, v3 clamp
	v_cmp_eq_u32_e32 vcc, 0, v3
	v_or_b32_e32 v7, 0x800000, v2
	v_cndmask_b32_e32 v10, v6, v31, vcc
	v_cndmask_b32_e32 v20, v7, v2, vcc
	v_add_u32_e32 v2, 20, v10
	v_add_u32_e32 v8, 0xffffff89, v3
	v_lshlrev_b64 v[2:3], v2, -1
	v_not_b32_e32 v2, v2
	v_add_u32_e32 v6, 19, v10
	v_and_b32_e32 v2, v20, v2
	v_mov_b32_e32 v3, v21
	v_lshlrev_b64 v[6:7], v6, 1
	v_cmp_eq_u64_e64 s[0:1], v[2:3], v[6:7]
	v_lshrrev_b64 v[2:3], v10, v[20:21]
	v_and_b32_e32 v20, 0x100000, v2
	v_cndmask_b32_e32 v6, v8, v32, vcc
	v_cmp_eq_u64_e32 vcc, 0, v[20:21]
	v_lshrrev_b32_e32 v7, 23, v2
	s_and_b64 vcc, vcc, s[0:1]
	v_add3_u32 v7, v6, v10, v7
	v_subbrev_co_u32_e32 v6, vcc, 0, v2, vcc
	v_and_b32_e32 v6, 0xfffff, v6
	v_add_co_u32_e32 v2, vcc, v6, v2
	v_add_u32_e32 v8, -1, v7
	v_addc_co_u32_e32 v3, vcc, 0, v3, vcc
	v_cmp_ne_u32_e32 vcc, 0, v8
                                        ; implicit-def: $vgpr6
	s_and_saveexec_b64 s[0:1], vcc
	s_xor_b64 s[0:1], exec, s[0:1]
; %bb.82:                               ;   in Loop: Header=BB31_18 Depth=1
	v_and_b32_e32 v20, 0x1000000, v2
	v_cmp_eq_u64_e32 vcc, 0, v[20:21]
	v_cndmask_b32_e32 v6, v7, v8, vcc
	v_bfe_u32 v7, v2, 24, 1
	v_lshrrev_b64 v[2:3], v7, v[2:3]
; %bb.83:                               ;   in Loop: Header=BB31_18 Depth=1
	s_andn2_saveexec_b64 s[0:1], s[0:1]
; %bb.84:                               ;   in Loop: Header=BB31_18 Depth=1
	v_bfe_u32 v6, v2, 23, 1
; %bb.85:                               ;   in Loop: Header=BB31_18 Depth=1
	s_or_b64 exec, exec, s[0:1]
	v_lshrrev_b64 v[2:3], 20, v[2:3]
	v_cmp_gt_i32_e32 vcc, 16, v6
	v_and_b32_sdwa v4, v4, s19 dst_sel:DWORD dst_unused:UNUSED_PAD src0_sel:BYTE_3 src1_sel:DWORD
	v_min_i32_e32 v7, 15, v6
	v_cndmask_b32_e32 v3, 0, v3, vcc
	v_cndmask_b32_e32 v2, 7, v2, vcc
	v_cmp_eq_u32_e32 vcc, 0, v6
	v_cmp_eq_u64_e64 s[0:1], 0, v[2:3]
	v_lshl_or_b32 v3, v7, 3, v4
	v_and_or_b32 v2, v2, 7, v3
	s_and_b64 s[0:1], vcc, s[0:1]
	v_cndmask_b32_e64 v2, v2, 0, s[0:1]
.LBB31_86:                              ;   in Loop: Header=BB31_18 Depth=1
	s_or_b64 exec, exec, s[16:17]
.LBB31_87:                              ;   in Loop: Header=BB31_18 Depth=1
	s_andn2_saveexec_b64 s[0:1], s[10:11]
	s_or_b64 exec, exec, s[0:1]
.LBB31_88:                              ;   in Loop: Header=BB31_18 Depth=1
	s_andn2_saveexec_b64 s[0:1], s[8:9]
	s_or_b64 exec, exec, s[0:1]
	global_store_byte v[26:27], v2, off offset:6
	v_mul_f32_e32 v2, v5, v28
	v_mul_f32_e32 v2, v2, v9
	;; [unrolled: 1-line block ×3, first 2 shown]
	v_min_f32_e32 v2, 0x43600000, v2
	v_max_f32_e32 v4, 0xc3600000, v2
	v_and_b32_e32 v20, 0x7f800000, v4
	v_or_b32_sdwa v2, v4, s13 dst_sel:DWORD dst_unused:UNUSED_PAD src0_sel:BYTE_3 src1_sel:DWORD
	v_cmp_ne_u64_e32 vcc, s[4:5], v[20:21]
	s_and_saveexec_b64 s[0:1], vcc
	s_xor_b64 s[8:9], exec, s[0:1]
	s_cbranch_execz .LBB31_17
; %bb.89:                               ;   in Loop: Header=BB31_18 Depth=1
	v_and_b32_e32 v20, 0x7fffffff, v4
	v_cmp_gt_u64_e32 vcc, s[6:7], v[20:21]
	s_and_saveexec_b64 s[0:1], vcc
	s_xor_b64 s[10:11], exec, s[0:1]
	s_cbranch_execz .LBB31_16
; %bb.90:                               ;   in Loop: Header=BB31_18 Depth=1
	v_cmp_ne_u32_e32 vcc, 0, v4
	v_mov_b32_e32 v2, 0
	s_and_saveexec_b64 s[16:17], vcc
	s_cbranch_execz .LBB31_15
; %bb.91:                               ;   in Loop: Header=BB31_18 Depth=1
	v_bfe_u32 v3, v4, 23, 8
	v_and_b32_e32 v2, 0x7fffff, v4
	v_sub_u32_e64 v5, s18, v3 clamp
	v_cmp_eq_u32_e32 vcc, 0, v3
	v_or_b32_e32 v6, 0x800000, v2
	v_cndmask_b32_e32 v5, v5, v31, vcc
	v_cndmask_b32_e32 v20, v6, v2, vcc
	v_add_u32_e32 v2, 20, v5
	v_add_u32_e32 v8, 0xffffff89, v3
	v_lshlrev_b64 v[2:3], v2, -1
	v_not_b32_e32 v2, v2
	v_add_u32_e32 v6, 19, v5
	v_and_b32_e32 v2, v20, v2
	v_mov_b32_e32 v3, v21
	v_lshlrev_b64 v[6:7], v6, 1
	v_cmp_eq_u64_e64 s[0:1], v[2:3], v[6:7]
	v_lshrrev_b64 v[2:3], v5, v[20:21]
	v_and_b32_e32 v20, 0x100000, v2
	v_cndmask_b32_e32 v6, v8, v32, vcc
	v_cmp_eq_u64_e32 vcc, 0, v[20:21]
	v_lshrrev_b32_e32 v7, 23, v2
	s_and_b64 vcc, vcc, s[0:1]
	v_add3_u32 v6, v6, v5, v7
	v_subbrev_co_u32_e32 v5, vcc, 0, v2, vcc
	v_and_b32_e32 v5, 0xfffff, v5
	v_add_co_u32_e32 v2, vcc, v5, v2
	v_add_u32_e32 v7, -1, v6
	v_addc_co_u32_e32 v3, vcc, 0, v3, vcc
	v_cmp_ne_u32_e32 vcc, 0, v7
                                        ; implicit-def: $vgpr5
	s_and_saveexec_b64 s[0:1], vcc
	s_xor_b64 s[0:1], exec, s[0:1]
; %bb.92:                               ;   in Loop: Header=BB31_18 Depth=1
	v_and_b32_e32 v20, 0x1000000, v2
	v_cmp_eq_u64_e32 vcc, 0, v[20:21]
	v_cndmask_b32_e32 v5, v6, v7, vcc
	v_bfe_u32 v6, v2, 24, 1
	v_lshrrev_b64 v[2:3], v6, v[2:3]
; %bb.93:                               ;   in Loop: Header=BB31_18 Depth=1
	s_andn2_saveexec_b64 s[0:1], s[0:1]
	s_cbranch_execz .LBB31_14
; %bb.94:                               ;   in Loop: Header=BB31_18 Depth=1
	v_bfe_u32 v5, v2, 23, 1
	s_branch .LBB31_14
.LBB31_95:
	s_endpgm
	.section	.rodata,"a",@progbits
	.p2align	6, 0x0
	.amdhsa_kernel _ZN4vllm42fused_add_rms_norm_static_fp8_quant_kernelIfLi8EN3c1015Float8_e4m3fnuzEEENSt9enable_ifIXaagtT0_Li0Esr12_typeConvertIT_EE6existsEvE4typeEPT1_PS4_iS9_PKS4_PKffii
		.amdhsa_group_segment_fixed_size 68
		.amdhsa_private_segment_fixed_size 0
		.amdhsa_kernarg_size 320
		.amdhsa_user_sgpr_count 6
		.amdhsa_user_sgpr_private_segment_buffer 1
		.amdhsa_user_sgpr_dispatch_ptr 0
		.amdhsa_user_sgpr_queue_ptr 0
		.amdhsa_user_sgpr_kernarg_segment_ptr 1
		.amdhsa_user_sgpr_dispatch_id 0
		.amdhsa_user_sgpr_flat_scratch_init 0
		.amdhsa_user_sgpr_kernarg_preload_length 0
		.amdhsa_user_sgpr_kernarg_preload_offset 0
		.amdhsa_user_sgpr_private_segment_size 0
		.amdhsa_uses_dynamic_stack 0
		.amdhsa_system_sgpr_private_segment_wavefront_offset 0
		.amdhsa_system_sgpr_workgroup_id_x 1
		.amdhsa_system_sgpr_workgroup_id_y 0
		.amdhsa_system_sgpr_workgroup_id_z 0
		.amdhsa_system_sgpr_workgroup_info 0
		.amdhsa_system_vgpr_workitem_id 0
		.amdhsa_next_free_vgpr 37
		.amdhsa_next_free_sgpr 25
		.amdhsa_accum_offset 40
		.amdhsa_reserve_vcc 1
		.amdhsa_reserve_flat_scratch 0
		.amdhsa_float_round_mode_32 0
		.amdhsa_float_round_mode_16_64 0
		.amdhsa_float_denorm_mode_32 3
		.amdhsa_float_denorm_mode_16_64 3
		.amdhsa_dx10_clamp 1
		.amdhsa_ieee_mode 1
		.amdhsa_fp16_overflow 0
		.amdhsa_tg_split 0
		.amdhsa_exception_fp_ieee_invalid_op 0
		.amdhsa_exception_fp_denorm_src 0
		.amdhsa_exception_fp_ieee_div_zero 0
		.amdhsa_exception_fp_ieee_overflow 0
		.amdhsa_exception_fp_ieee_underflow 0
		.amdhsa_exception_fp_ieee_inexact 0
		.amdhsa_exception_int_div_zero 0
	.end_amdhsa_kernel
	.section	.text._ZN4vllm42fused_add_rms_norm_static_fp8_quant_kernelIfLi8EN3c1015Float8_e4m3fnuzEEENSt9enable_ifIXaagtT0_Li0Esr12_typeConvertIT_EE6existsEvE4typeEPT1_PS4_iS9_PKS4_PKffii,"axG",@progbits,_ZN4vllm42fused_add_rms_norm_static_fp8_quant_kernelIfLi8EN3c1015Float8_e4m3fnuzEEENSt9enable_ifIXaagtT0_Li0Esr12_typeConvertIT_EE6existsEvE4typeEPT1_PS4_iS9_PKS4_PKffii,comdat
.Lfunc_end31:
	.size	_ZN4vllm42fused_add_rms_norm_static_fp8_quant_kernelIfLi8EN3c1015Float8_e4m3fnuzEEENSt9enable_ifIXaagtT0_Li0Esr12_typeConvertIT_EE6existsEvE4typeEPT1_PS4_iS9_PKS4_PKffii, .Lfunc_end31-_ZN4vllm42fused_add_rms_norm_static_fp8_quant_kernelIfLi8EN3c1015Float8_e4m3fnuzEEENSt9enable_ifIXaagtT0_Li0Esr12_typeConvertIT_EE6existsEvE4typeEPT1_PS4_iS9_PKS4_PKffii
                                        ; -- End function
	.section	.AMDGPU.csdata,"",@progbits
; Kernel info:
; codeLenInByte = 5020
; NumSgprs: 29
; NumVgprs: 37
; NumAgprs: 0
; TotalNumVgprs: 37
; ScratchSize: 0
; MemoryBound: 1
; FloatMode: 240
; IeeeMode: 1
; LDSByteSize: 68 bytes/workgroup (compile time only)
; SGPRBlocks: 3
; VGPRBlocks: 4
; NumSGPRsForWavesPerEU: 29
; NumVGPRsForWavesPerEU: 37
; AccumOffset: 40
; Occupancy: 8
; WaveLimiterHint : 0
; COMPUTE_PGM_RSRC2:SCRATCH_EN: 0
; COMPUTE_PGM_RSRC2:USER_SGPR: 6
; COMPUTE_PGM_RSRC2:TRAP_HANDLER: 0
; COMPUTE_PGM_RSRC2:TGID_X_EN: 1
; COMPUTE_PGM_RSRC2:TGID_Y_EN: 0
; COMPUTE_PGM_RSRC2:TGID_Z_EN: 0
; COMPUTE_PGM_RSRC2:TIDIG_COMP_CNT: 0
; COMPUTE_PGM_RSRC3_GFX90A:ACCUM_OFFSET: 9
; COMPUTE_PGM_RSRC3_GFX90A:TG_SPLIT: 0
	.section	.text._ZN4vllm42fused_add_rms_norm_static_fp8_quant_kernelIN3c104HalfELi8ENS1_13Float8_e4m3fnEEENSt9enable_ifIXaagtT0_Li0Esr12_typeConvertIT_EE6existsEvE4typeEPT1_PS5_iSA_PKS5_PKffii,"axG",@progbits,_ZN4vllm42fused_add_rms_norm_static_fp8_quant_kernelIN3c104HalfELi8ENS1_13Float8_e4m3fnEEENSt9enable_ifIXaagtT0_Li0Esr12_typeConvertIT_EE6existsEvE4typeEPT1_PS5_iSA_PKS5_PKffii,comdat
	.protected	_ZN4vllm42fused_add_rms_norm_static_fp8_quant_kernelIN3c104HalfELi8ENS1_13Float8_e4m3fnEEENSt9enable_ifIXaagtT0_Li0Esr12_typeConvertIT_EE6existsEvE4typeEPT1_PS5_iSA_PKS5_PKffii ; -- Begin function _ZN4vllm42fused_add_rms_norm_static_fp8_quant_kernelIN3c104HalfELi8ENS1_13Float8_e4m3fnEEENSt9enable_ifIXaagtT0_Li0Esr12_typeConvertIT_EE6existsEvE4typeEPT1_PS5_iSA_PKS5_PKffii
	.globl	_ZN4vllm42fused_add_rms_norm_static_fp8_quant_kernelIN3c104HalfELi8ENS1_13Float8_e4m3fnEEENSt9enable_ifIXaagtT0_Li0Esr12_typeConvertIT_EE6existsEvE4typeEPT1_PS5_iSA_PKS5_PKffii
	.p2align	8
	.type	_ZN4vllm42fused_add_rms_norm_static_fp8_quant_kernelIN3c104HalfELi8ENS1_13Float8_e4m3fnEEENSt9enable_ifIXaagtT0_Li0Esr12_typeConvertIT_EE6existsEvE4typeEPT1_PS5_iSA_PKS5_PKffii,@function
_ZN4vllm42fused_add_rms_norm_static_fp8_quant_kernelIN3c104HalfELi8ENS1_13Float8_e4m3fnEEENSt9enable_ifIXaagtT0_Li0Esr12_typeConvertIT_EE6existsEvE4typeEPT1_PS5_iSA_PKS5_PKffii: ; @_ZN4vllm42fused_add_rms_norm_static_fp8_quant_kernelIN3c104HalfELi8ENS1_13Float8_e4m3fnEEENSt9enable_ifIXaagtT0_Li0Esr12_typeConvertIT_EE6existsEvE4typeEPT1_PS5_iSA_PKS5_PKffii
; %bb.0:
	s_load_dword s22, s[4:5], 0x38
	s_load_dwordx2 s[12:13], s[4:5], 0x18
                                        ; implicit-def: $sgpr16
                                        ; implicit-def: $sgpr7
	s_waitcnt lgkmcnt(0)
	s_ashr_i32 s0, s22, 31
	s_lshr_b32 s0, s0, 29
	s_add_i32 s0, s22, s0
	s_ashr_i32 s20, s0, 3
	v_cmp_gt_i32_e64 s[0:1], s20, v0
	v_cmp_le_i32_e32 vcc, s20, v0
	s_and_saveexec_b64 s[2:3], vcc
	s_xor_b64 s[2:3], exec, s[2:3]
	s_cbranch_execz .LBB32_2
; %bb.1:
	s_load_dword s7, s[4:5], 0x4c
	s_mov_b32 s16, 0
	s_waitcnt lgkmcnt(0)
	s_and_b32 s7, s7, 0xffff
.LBB32_2:
	s_or_saveexec_b64 s[2:3], s[2:3]
	s_load_dwordx2 s[14:15], s[4:5], 0x0
	s_load_dwordx4 s[8:11], s[4:5], 0x20
	v_mov_b32_e32 v2, s16
	v_mov_b32_e32 v10, s7
	s_mul_i32 s21, s20, s6
	s_xor_b64 exec, exec, s[2:3]
	s_cbranch_execz .LBB32_6
; %bb.3:
	s_load_dword s23, s[4:5], 0x10
	s_load_dword s7, s[4:5], 0x4c
	s_load_dwordx2 s[16:17], s[4:5], 0x8
	s_mov_b64 s[18:19], 0
	v_mov_b32_e32 v2, 0
	s_waitcnt lgkmcnt(0)
	s_ashr_i32 s24, s23, 31
	s_lshr_b32 s24, s24, 29
	s_add_i32 s23, s23, s24
	s_ashr_i32 s23, s23, 3
	s_and_b32 s7, s7, 0xffff
	s_mul_i32 s6, s23, s6
	v_mov_b32_e32 v1, s17
	v_mov_b32_e32 v3, s13
	;; [unrolled: 1-line block ×3, first 2 shown]
.LBB32_4:                               ; =>This Inner Loop Header: Depth=1
	v_add_u32_e32 v6, s6, v4
	v_ashrrev_i32_e32 v7, 31, v6
	v_add_u32_e32 v8, s21, v4
	v_lshlrev_b64 v[6:7], 4, v[6:7]
	v_ashrrev_i32_e32 v9, 31, v8
	v_add_co_u32_e32 v14, vcc, s16, v6
	v_lshlrev_b64 v[8:9], 4, v[8:9]
	v_addc_co_u32_e32 v15, vcc, v1, v7, vcc
	v_add_co_u32_e32 v16, vcc, s12, v8
	v_addc_co_u32_e32 v17, vcc, v3, v9, vcc
	global_load_dwordx4 v[6:9], v[14:15], off
	global_load_dwordx4 v[10:13], v[16:17], off
	v_add_u32_e32 v4, s7, v4
	v_cmp_le_i32_e32 vcc, s20, v4
	s_or_b64 s[18:19], vcc, s[18:19]
	s_waitcnt vmcnt(0)
	v_pk_add_f16 v6, v6, v10
	v_pk_add_f16 v7, v7, v11
	;; [unrolled: 1-line block ×3, first 2 shown]
	v_cvt_f32_f16_sdwa v5, v6 dst_sel:DWORD dst_unused:UNUSED_PAD src0_sel:WORD_1
	v_cvt_f32_f16_sdwa v10, v7 dst_sel:DWORD dst_unused:UNUSED_PAD src0_sel:WORD_1
	v_pk_add_f16 v9, v9, v13
	v_cvt_f32_f16_sdwa v11, v8 dst_sel:DWORD dst_unused:UNUSED_PAD src0_sel:WORD_1
	v_cvt_f32_f16_sdwa v12, v9 dst_sel:DWORD dst_unused:UNUSED_PAD src0_sel:WORD_1
	v_mul_f32_e32 v5, v5, v5
	v_mul_f32_e32 v10, v10, v10
	global_store_dwordx4 v[16:17], v[6:9], off
	v_mul_f32_e32 v11, v11, v11
	v_fma_mix_f32 v5, v6, v6, v5 op_sel_hi:[1,1,0]
	v_fma_mix_f32 v6, v7, v7, v10 op_sel_hi:[1,1,0]
	v_mul_f32_e32 v12, v12, v12
	v_fma_mix_f32 v7, v8, v8, v11 op_sel_hi:[1,1,0]
	v_add_f32_e32 v5, v5, v6
	v_fma_mix_f32 v8, v9, v9, v12 op_sel_hi:[1,1,0]
	v_add_f32_e32 v5, v5, v7
	v_add_f32_e32 v5, v5, v8
	;; [unrolled: 1-line block ×3, first 2 shown]
	s_andn2_b64 exec, exec, s[18:19]
	s_cbranch_execnz .LBB32_4
; %bb.5:
	s_or_b64 exec, exec, s[18:19]
	v_mov_b32_e32 v10, s7
.LBB32_6:
	s_or_b64 exec, exec, s[2:3]
	v_mbcnt_lo_u32_b32 v1, -1, 0
	v_mbcnt_hi_u32_b32 v1, -1, v1
	v_and_b32_e32 v3, 63, v1
	v_cmp_ne_u32_e32 vcc, 63, v3
	v_addc_co_u32_e32 v4, vcc, 0, v1, vcc
	v_lshlrev_b32_e32 v4, 2, v4
	ds_bpermute_b32 v4, v4, v2
	v_and_b32_e32 v5, 0x3c0, v0
	v_sub_u32_e64 v5, v10, v5 clamp
	v_add_u32_e32 v6, 1, v1
	v_cmp_lt_u32_e32 vcc, v6, v5
	s_waitcnt lgkmcnt(0)
	v_add_f32_e32 v4, v2, v4
	v_cndmask_b32_e32 v2, v2, v4, vcc
	v_cmp_gt_u32_e32 vcc, 62, v3
	v_cndmask_b32_e64 v4, 0, 1, vcc
	v_lshlrev_b32_e32 v4, 1, v4
	v_add_lshl_u32 v4, v4, v1, 2
	ds_bpermute_b32 v4, v4, v2
	v_add_u32_e32 v6, 2, v1
	v_cmp_lt_u32_e32 vcc, v6, v5
	v_add_u32_e32 v6, 4, v1
	s_waitcnt lgkmcnt(0)
	v_add_f32_e32 v4, v2, v4
	v_cndmask_b32_e32 v2, v2, v4, vcc
	v_cmp_gt_u32_e32 vcc, 60, v3
	v_cndmask_b32_e64 v4, 0, 1, vcc
	v_lshlrev_b32_e32 v4, 2, v4
	v_add_lshl_u32 v4, v4, v1, 2
	ds_bpermute_b32 v4, v4, v2
	v_cmp_lt_u32_e32 vcc, v6, v5
	v_add_u32_e32 v6, 8, v1
	s_waitcnt lgkmcnt(0)
	v_add_f32_e32 v4, v2, v4
	v_cndmask_b32_e32 v2, v2, v4, vcc
	v_cmp_gt_u32_e32 vcc, 56, v3
	v_cndmask_b32_e64 v4, 0, 1, vcc
	v_lshlrev_b32_e32 v4, 3, v4
	v_add_lshl_u32 v4, v4, v1, 2
	ds_bpermute_b32 v4, v4, v2
	;; [unrolled: 10-line block ×3, first 2 shown]
	v_cmp_lt_u32_e32 vcc, v6, v5
	s_waitcnt lgkmcnt(0)
	v_add_f32_e32 v4, v2, v4
	v_cndmask_b32_e32 v2, v2, v4, vcc
	v_cmp_gt_u32_e32 vcc, 32, v3
	v_cndmask_b32_e64 v3, 0, 1, vcc
	v_lshlrev_b32_e32 v3, 5, v3
	v_add_lshl_u32 v3, v3, v1, 2
	ds_bpermute_b32 v3, v3, v2
	v_add_u32_e32 v4, 32, v1
	v_cmp_lt_u32_e32 vcc, v4, v5
	s_waitcnt lgkmcnt(0)
	v_add_f32_e32 v3, v2, v3
	v_cndmask_b32_e32 v2, v2, v3, vcc
	v_cmp_eq_u32_e32 vcc, 0, v1
	s_and_saveexec_b64 s[2:3], vcc
	s_cbranch_execz .LBB32_8
; %bb.7:
	v_lshrrev_b32_e32 v3, 4, v0
	v_and_b32_e32 v3, 60, v3
	ds_write_b32 v3, v2
.LBB32_8:
	s_or_b64 exec, exec, s[2:3]
	v_cmp_gt_u32_e32 vcc, 16, v0
	s_waitcnt lgkmcnt(0)
	s_barrier
	s_and_saveexec_b64 s[6:7], vcc
	s_cbranch_execz .LBB32_10
; %bb.9:
	v_lshlrev_b32_e32 v2, 2, v1
	ds_read_b32 v2, v2
	v_and_b32_e32 v3, 15, v1
	v_cmp_ne_u32_e32 vcc, 15, v3
	v_addc_co_u32_e32 v4, vcc, 0, v1, vcc
	v_lshlrev_b32_e32 v4, 2, v4
	s_waitcnt lgkmcnt(0)
	ds_bpermute_b32 v4, v4, v2
	v_add_u32_e32 v5, 63, v10
	v_lshrrev_b32_e32 v5, 6, v5
	v_add_u32_e32 v6, 1, v3
	v_cmp_gt_u32_e64 s[2:3], 14, v3
	v_cmp_lt_u32_e32 vcc, v6, v5
	v_cndmask_b32_e64 v6, 0, 1, s[2:3]
	s_waitcnt lgkmcnt(0)
	v_add_f32_e32 v4, v2, v4
	v_lshlrev_b32_e32 v6, 1, v6
	v_cndmask_b32_e32 v4, v2, v4, vcc
	v_add_lshl_u32 v6, v6, v1, 2
	ds_bpermute_b32 v6, v6, v4
	v_add_u32_e32 v7, 2, v3
	v_cmp_lt_u32_e64 s[2:3], v7, v5
	v_add_u32_e32 v7, 4, v3
	s_waitcnt lgkmcnt(0)
	v_add_f32_e32 v6, v4, v6
	v_cndmask_b32_e64 v4, v4, v6, s[2:3]
	v_cmp_gt_u32_e64 s[2:3], 12, v3
	v_cndmask_b32_e64 v6, 0, 1, s[2:3]
	v_lshlrev_b32_e32 v6, 2, v6
	v_add_lshl_u32 v6, v6, v1, 2
	ds_bpermute_b32 v6, v6, v4
	v_cmp_lt_u32_e64 s[2:3], v7, v5
	s_waitcnt lgkmcnt(0)
	v_add_f32_e32 v6, v4, v6
	v_cndmask_b32_e64 v4, v4, v6, s[2:3]
	v_cmp_gt_u32_e64 s[2:3], 8, v3
	v_cndmask_b32_e64 v6, 0, 1, s[2:3]
	v_lshlrev_b32_e32 v6, 3, v6
	v_add_lshl_u32 v1, v6, v1, 2
	ds_bpermute_b32 v1, v1, v4
	v_add_u32_e32 v3, 8, v3
	v_cmp_lt_u32_e64 s[2:3], v3, v5
	s_waitcnt lgkmcnt(0)
	v_add_f32_e32 v1, v4, v1
	v_cndmask_b32_e64 v1, v4, v1, s[2:3]
	v_cndmask_b32_e32 v2, v2, v1, vcc
.LBB32_10:
	s_or_b64 exec, exec, s[6:7]
	v_cmp_eq_u32_e32 vcc, 0, v0
	s_and_saveexec_b64 s[2:3], vcc
	s_cbranch_execz .LBB32_12
; %bb.11:
	v_cvt_f32_i32_e32 v1, s22
	s_load_dword s6, s[4:5], 0x30
	v_div_scale_f32 v3, s[4:5], v1, v1, v2
	v_rcp_f32_e32 v4, v3
	v_div_scale_f32 v5, vcc, v2, v1, v2
	s_mov_b32 s4, 0x800000
	v_fma_f32 v6, -v3, v4, 1.0
	v_fmac_f32_e32 v4, v6, v4
	v_mul_f32_e32 v6, v5, v4
	v_fma_f32 v7, -v3, v6, v5
	v_fmac_f32_e32 v6, v7, v4
	v_fma_f32 v3, -v3, v6, v5
	v_div_fmas_f32 v3, v3, v4, v6
	v_div_fixup_f32 v1, v3, v1, v2
	s_waitcnt lgkmcnt(0)
	v_add_f32_e32 v1, s6, v1
	v_mul_f32_e32 v2, 0x4b800000, v1
	v_cmp_gt_f32_e32 vcc, s4, v1
	v_cndmask_b32_e32 v1, v1, v2, vcc
	v_rsq_f32_e32 v1, v1
	v_mul_f32_e32 v2, 0x45800000, v1
	v_cndmask_b32_e32 v1, v1, v2, vcc
	v_mov_b32_e32 v2, 0
	ds_write_b32 v2, v1 offset:64
.LBB32_12:
	s_or_b64 exec, exec, s[2:3]
	s_waitcnt lgkmcnt(0)
	s_barrier
	s_and_saveexec_b64 s[2:3], s[0:1]
	s_cbranch_execz .LBB32_143
; %bb.13:
	s_load_dword s2, s[10:11], 0x0
	v_mov_b32_e32 v13, 0
	ds_read_b32 v22, v13 offset:64
	v_mov_b32_e32 v11, v13
	v_add_lshl_u32 v1, v0, s21, 3
	s_waitcnt lgkmcnt(0)
	v_div_scale_f32 v2, s[0:1], s2, s2, 1.0
	v_rcp_f32_e32 v3, v2
	v_div_scale_f32 v4, vcc, 1.0, s2, 1.0
	v_lshlrev_b32_e32 v24, 3, v10
	v_fma_f32 v5, -v2, v3, 1.0
	v_fmac_f32_e32 v3, v5, v3
	v_mul_f32_e32 v5, v4, v3
	v_fma_f32 v6, -v2, v5, v4
	v_fmac_f32_e32 v5, v6, v3
	v_fma_f32 v2, -v2, v5, v4
	v_div_fmas_f32 v2, v2, v3, v5
	v_div_fixup_f32 v23, v2, s2, 1.0
	v_lshlrev_b32_e32 v2, 4, v0
	v_mov_b32_e32 v3, s9
	v_add_co_u32_e32 v2, vcc, s8, v2
	v_addc_co_u32_e32 v3, vcc, 0, v3, vcc
	v_add_co_u32_e32 v14, vcc, 14, v2
	v_addc_co_u32_e32 v15, vcc, 0, v3, vcc
	v_lshlrev_b64 v[16:17], 4, v[10:11]
	s_mov_b64 s[2:3], 0
	v_mov_b32_e32 v11, s13
	s_movk_i32 s13, 0x80
	s_mov_b64 s[4:5], 0x7f800000
	s_mov_b64 s[6:7], 0x43e00001
	s_movk_i32 s18, 0x79
	s_movk_i32 s19, 0x7f
	v_mov_b32_e32 v25, 0x78
	v_mov_b32_e32 v26, 0xffffff89
	s_branch .LBB32_15
.LBB32_14:                              ;   in Loop: Header=BB32_15 Depth=1
	s_or_b64 exec, exec, s[0:1]
	v_add_u32_e32 v0, v0, v10
	v_cmp_le_i32_e32 vcc, s20, v0
	s_or_b64 s[2:3], vcc, s[2:3]
	v_add_co_u32_e32 v14, vcc, v14, v16
	v_add_u32_e32 v1, v1, v24
	v_addc_co_u32_e32 v15, vcc, v15, v17, vcc
	global_store_byte v[18:19], v3, off offset:7
	s_andn2_b64 exec, exec, s[2:3]
	s_cbranch_execz .LBB32_143
.LBB32_15:                              ; =>This Inner Loop Header: Depth=1
	v_add_u32_e32 v2, s21, v0
	v_ashrrev_i32_e32 v3, 31, v2
	v_lshlrev_b64 v[2:3], 4, v[2:3]
	v_add_co_u32_e32 v18, vcc, s12, v2
	v_addc_co_u32_e32 v19, vcc, v11, v3, vcc
	global_load_dwordx4 v[2:5], v[18:19], off
	global_load_dwordx4 v[6:9], v[14:15], off offset:-14
	v_mov_b32_e32 v29, v13
	s_waitcnt vmcnt(1)
	v_fma_mixlo_f16 v12, v22, v2, 0 op_sel_hi:[0,1,0]
	s_waitcnt vmcnt(0)
	v_mul_f16_e32 v12, v6, v12
	v_cvt_f32_f16_e32 v12, v12
	v_mul_f32_e32 v12, v23, v12
	v_min_f32_e32 v12, 0x43e00000, v12
	v_max_f32_e32 v18, 0xc3e00000, v12
	v_and_b32_sdwa v20, v18, s13 dst_sel:DWORD dst_unused:UNUSED_PAD src0_sel:BYTE_3 src1_sel:DWORD
	v_and_b32_e32 v28, 0x7f800000, v18
	v_and_b32_e32 v12, 0x7fffff, v18
	v_or_b32_e32 v21, 0x7e, v20
	v_cmp_ne_u64_e32 vcc, s[4:5], v[28:29]
	s_and_saveexec_b64 s[0:1], vcc
	s_xor_b64 s[8:9], exec, s[0:1]
	s_cbranch_execz .LBB32_29
; %bb.16:                               ;   in Loop: Header=BB32_15 Depth=1
	v_and_b32_e32 v28, 0x7fffffff, v18
	v_mov_b32_e32 v29, v13
	v_cmp_gt_u64_e32 vcc, s[6:7], v[28:29]
	s_and_saveexec_b64 s[0:1], vcc
	s_xor_b64 s[10:11], exec, s[0:1]
	s_cbranch_execz .LBB32_28
; %bb.17:                               ;   in Loop: Header=BB32_15 Depth=1
	v_cmp_ne_u32_e32 vcc, 0, v18
	v_mov_b32_e32 v21, 0
	s_and_saveexec_b64 s[16:17], vcc
	s_cbranch_execz .LBB32_27
; %bb.18:                               ;   in Loop: Header=BB32_15 Depth=1
	v_bfe_u32 v18, v18, 23, 8
	v_sub_u32_e64 v19, s18, v18 clamp
	v_cmp_eq_u32_e32 vcc, 0, v18
	v_cndmask_b32_e32 v30, v19, v25, vcc
	v_add_u32_e32 v27, 0xffffff88, v18
	v_add_u32_e32 v18, 20, v30
	v_or_b32_e32 v21, 0x800000, v12
	v_lshlrev_b64 v[18:19], v18, -1
	v_cndmask_b32_e32 v12, v21, v12, vcc
	v_not_b32_e32 v19, v19
	v_not_b32_e32 v18, v18
	v_add_u32_e32 v21, 19, v30
	v_and_b32_e32 v19, 0, v19
	v_and_b32_e32 v18, v12, v18
	v_lshlrev_b64 v[28:29], v21, 1
	v_cmp_eq_u64_e64 s[0:1], v[18:19], v[28:29]
	v_lshrrev_b64 v[18:19], v30, v[12:13]
	v_cndmask_b32_e32 v12, v27, v26, vcc
	v_lshrrev_b32_e32 v21, 23, v18
	v_add3_u32 v21, v12, v30, v21
	v_and_b32_e32 v12, 0x100000, v18
	v_cmp_eq_u64_e32 vcc, 0, v[12:13]
	s_and_b64 vcc, vcc, s[0:1]
	v_subbrev_co_u32_e32 v12, vcc, 0, v18, vcc
	v_and_b32_e32 v12, 0xfffff, v12
	v_add_co_u32_e32 v18, vcc, v12, v18
	v_add_u32_e32 v27, -1, v21
	v_addc_co_u32_e32 v19, vcc, 0, v19, vcc
	v_cmp_ne_u32_e32 vcc, 0, v27
                                        ; implicit-def: $vgpr12
	s_and_saveexec_b64 s[0:1], vcc
	s_xor_b64 s[0:1], exec, s[0:1]
; %bb.19:                               ;   in Loop: Header=BB32_15 Depth=1
	v_and_b32_e32 v12, 0x1000000, v18
	v_cmp_eq_u64_e32 vcc, 0, v[12:13]
	v_cndmask_b32_e32 v12, v21, v27, vcc
	v_bfe_u32 v21, v18, 24, 1
	v_lshrrev_b64 v[18:19], v21, v[18:19]
; %bb.20:                               ;   in Loop: Header=BB32_15 Depth=1
	s_andn2_saveexec_b64 s[0:1], s[0:1]
; %bb.21:                               ;   in Loop: Header=BB32_15 Depth=1
	v_bfe_u32 v12, v18, 23, 1
; %bb.22:                               ;   in Loop: Header=BB32_15 Depth=1
	s_or_b64 exec, exec, s[0:1]
	v_lshrrev_b64 v[18:19], 20, v[18:19]
	v_cmp_gt_i32_e32 vcc, 16, v12
	v_cndmask_b32_e32 v19, 0, v19, vcc
	v_cndmask_b32_e32 v18, 7, v18, vcc
	v_cmp_ne_u32_e32 vcc, 0, v12
	v_cmp_ne_u64_e64 s[0:1], 0, v[18:19]
	s_or_b64 s[0:1], vcc, s[0:1]
                                        ; implicit-def: $vgpr21
	s_and_saveexec_b64 s[22:23], s[0:1]
	s_xor_b64 s[0:1], exec, s[22:23]
; %bb.23:                               ;   in Loop: Header=BB32_15 Depth=1
	v_min_i32_e32 v12, 15, v12
	v_lshl_or_b32 v12, v12, 3, v20
	v_and_or_b32 v21, v18, 7, v12
                                        ; implicit-def: $vgpr20
; %bb.24:                               ;   in Loop: Header=BB32_15 Depth=1
	s_andn2_saveexec_b64 s[0:1], s[0:1]
; %bb.25:                               ;   in Loop: Header=BB32_15 Depth=1
	v_mov_b32_e32 v21, v20
; %bb.26:                               ;   in Loop: Header=BB32_15 Depth=1
	s_or_b64 exec, exec, s[0:1]
.LBB32_27:                              ;   in Loop: Header=BB32_15 Depth=1
	s_or_b64 exec, exec, s[16:17]
.LBB32_28:                              ;   in Loop: Header=BB32_15 Depth=1
	s_andn2_saveexec_b64 s[0:1], s[10:11]
	s_or_b64 exec, exec, s[0:1]
                                        ; implicit-def: $vgpr18
.LBB32_29:                              ;   in Loop: Header=BB32_15 Depth=1
	s_andn2_saveexec_b64 s[0:1], s[8:9]
; %bb.30:                               ;   in Loop: Header=BB32_15 Depth=1
	v_or_b32_sdwa v18, v18, s19 dst_sel:DWORD dst_unused:UNUSED_PAD src0_sel:BYTE_3 src1_sel:DWORD
	v_cmp_eq_u64_e32 vcc, 0, v[12:13]
	v_cndmask_b32_e32 v21, v18, v21, vcc
; %bb.31:                               ;   in Loop: Header=BB32_15 Depth=1
	s_or_b64 exec, exec, s[0:1]
	v_fma_mixlo_f16 v2, v22, v2, 0 op_sel:[0,1,0] op_sel_hi:[0,1,0]
	v_mul_f16_sdwa v2, v6, v2 dst_sel:DWORD dst_unused:UNUSED_PAD src0_sel:WORD_1 src1_sel:DWORD
	v_cvt_f32_f16_e32 v2, v2
	v_ashrrev_i32_e32 v12, 31, v1
	v_mov_b32_e32 v19, s15
	v_add_co_u32_e32 v18, vcc, s14, v1
	v_mul_f32_e32 v2, v23, v2
	v_min_f32_e32 v2, 0x43e00000, v2
	v_max_f32_e32 v20, 0xc3e00000, v2
	v_addc_co_u32_e32 v19, vcc, v19, v12, vcc
	v_and_b32_sdwa v2, v20, s13 dst_sel:DWORD dst_unused:UNUSED_PAD src0_sel:BYTE_3 src1_sel:DWORD
	v_and_b32_e32 v28, 0x7f800000, v20
	v_mov_b32_e32 v29, v13
	v_and_b32_e32 v12, 0x7fffff, v20
	v_or_b32_e32 v6, 0x7e, v2
	v_cmp_ne_u64_e32 vcc, s[4:5], v[28:29]
	global_store_byte v[18:19], v21, off
	s_and_saveexec_b64 s[0:1], vcc
	s_xor_b64 s[8:9], exec, s[0:1]
	s_cbranch_execz .LBB32_45
; %bb.32:                               ;   in Loop: Header=BB32_15 Depth=1
	v_and_b32_e32 v28, 0x7fffffff, v20
	v_mov_b32_e32 v29, v13
	v_cmp_gt_u64_e32 vcc, s[6:7], v[28:29]
	s_and_saveexec_b64 s[0:1], vcc
	s_xor_b64 s[10:11], exec, s[0:1]
	s_cbranch_execz .LBB32_44
; %bb.33:                               ;   in Loop: Header=BB32_15 Depth=1
	v_cmp_ne_u32_e32 vcc, 0, v20
	v_mov_b32_e32 v6, 0
	s_and_saveexec_b64 s[16:17], vcc
	s_cbranch_execz .LBB32_43
; %bb.34:                               ;   in Loop: Header=BB32_15 Depth=1
	v_bfe_u32 v6, v20, 23, 8
	v_sub_u32_e64 v20, s18, v6 clamp
	v_cmp_eq_u32_e32 vcc, 0, v6
	v_add_u32_e32 v27, 0xffffff88, v6
	v_cndmask_b32_e32 v6, v20, v25, vcc
	v_or_b32_e32 v21, 0x800000, v12
	v_add_u32_e32 v20, 20, v6
	v_cndmask_b32_e32 v12, v21, v12, vcc
	v_lshlrev_b64 v[20:21], v20, -1
	v_not_b32_e32 v21, v21
	v_not_b32_e32 v20, v20
	v_add_u32_e32 v28, 19, v6
	v_and_b32_e32 v21, 0, v21
	v_and_b32_e32 v20, v12, v20
	v_lshlrev_b64 v[28:29], v28, 1
	v_cmp_eq_u64_e64 s[0:1], v[20:21], v[28:29]
	v_lshrrev_b64 v[20:21], v6, v[12:13]
	v_cndmask_b32_e32 v12, v27, v26, vcc
	v_lshrrev_b32_e32 v27, 23, v20
	v_add3_u32 v6, v12, v6, v27
	v_and_b32_e32 v12, 0x100000, v20
	v_cmp_eq_u64_e32 vcc, 0, v[12:13]
	s_and_b64 vcc, vcc, s[0:1]
	v_subbrev_co_u32_e32 v12, vcc, 0, v20, vcc
	v_and_b32_e32 v12, 0xfffff, v12
	v_add_co_u32_e32 v20, vcc, v12, v20
	v_add_u32_e32 v27, -1, v6
	v_addc_co_u32_e32 v21, vcc, 0, v21, vcc
	v_cmp_ne_u32_e32 vcc, 0, v27
                                        ; implicit-def: $vgpr12
	s_and_saveexec_b64 s[0:1], vcc
	s_xor_b64 s[0:1], exec, s[0:1]
; %bb.35:                               ;   in Loop: Header=BB32_15 Depth=1
	v_and_b32_e32 v12, 0x1000000, v20
	v_cmp_eq_u64_e32 vcc, 0, v[12:13]
	v_cndmask_b32_e32 v12, v6, v27, vcc
	v_bfe_u32 v6, v20, 24, 1
	v_lshrrev_b64 v[20:21], v6, v[20:21]
; %bb.36:                               ;   in Loop: Header=BB32_15 Depth=1
	s_andn2_saveexec_b64 s[0:1], s[0:1]
; %bb.37:                               ;   in Loop: Header=BB32_15 Depth=1
	v_bfe_u32 v12, v20, 23, 1
; %bb.38:                               ;   in Loop: Header=BB32_15 Depth=1
	s_or_b64 exec, exec, s[0:1]
	v_lshrrev_b64 v[20:21], 20, v[20:21]
	v_cmp_gt_i32_e32 vcc, 16, v12
	v_cndmask_b32_e32 v21, 0, v21, vcc
	v_cndmask_b32_e32 v20, 7, v20, vcc
	v_cmp_ne_u32_e32 vcc, 0, v12
	v_cmp_ne_u64_e64 s[0:1], 0, v[20:21]
	s_or_b64 s[0:1], vcc, s[0:1]
                                        ; implicit-def: $vgpr6
	s_and_saveexec_b64 s[22:23], s[0:1]
	s_xor_b64 s[0:1], exec, s[22:23]
; %bb.39:                               ;   in Loop: Header=BB32_15 Depth=1
	v_min_i32_e32 v6, 15, v12
	v_lshl_or_b32 v2, v6, 3, v2
	v_and_or_b32 v6, v20, 7, v2
                                        ; implicit-def: $vgpr2
; %bb.40:                               ;   in Loop: Header=BB32_15 Depth=1
	s_andn2_saveexec_b64 s[0:1], s[0:1]
; %bb.41:                               ;   in Loop: Header=BB32_15 Depth=1
	v_mov_b32_e32 v6, v2
; %bb.42:                               ;   in Loop: Header=BB32_15 Depth=1
	s_or_b64 exec, exec, s[0:1]
.LBB32_43:                              ;   in Loop: Header=BB32_15 Depth=1
	s_or_b64 exec, exec, s[16:17]
.LBB32_44:                              ;   in Loop: Header=BB32_15 Depth=1
	s_andn2_saveexec_b64 s[0:1], s[10:11]
	s_or_b64 exec, exec, s[0:1]
                                        ; implicit-def: $vgpr20
.LBB32_45:                              ;   in Loop: Header=BB32_15 Depth=1
	s_andn2_saveexec_b64 s[0:1], s[8:9]
; %bb.46:                               ;   in Loop: Header=BB32_15 Depth=1
	v_or_b32_sdwa v2, v20, s19 dst_sel:DWORD dst_unused:UNUSED_PAD src0_sel:BYTE_3 src1_sel:DWORD
	v_cmp_eq_u64_e32 vcc, 0, v[12:13]
	v_cndmask_b32_e32 v6, v2, v6, vcc
; %bb.47:                               ;   in Loop: Header=BB32_15 Depth=1
	s_or_b64 exec, exec, s[0:1]
	v_fma_mixlo_f16 v2, v22, v3, 0 op_sel_hi:[0,1,0]
	v_mul_f16_e32 v2, v7, v2
	v_cvt_f32_f16_e32 v2, v2
	v_mov_b32_e32 v29, v13
	global_store_byte v[18:19], v6, off offset:1
	v_mul_f32_e32 v2, v23, v2
	v_min_f32_e32 v2, 0x43e00000, v2
	v_max_f32_e32 v20, 0xc3e00000, v2
	v_and_b32_sdwa v2, v20, s13 dst_sel:DWORD dst_unused:UNUSED_PAD src0_sel:BYTE_3 src1_sel:DWORD
	v_and_b32_e32 v28, 0x7f800000, v20
	v_and_b32_e32 v12, 0x7fffff, v20
	v_or_b32_e32 v6, 0x7e, v2
	v_cmp_ne_u64_e32 vcc, s[4:5], v[28:29]
	s_and_saveexec_b64 s[0:1], vcc
	s_xor_b64 s[8:9], exec, s[0:1]
	s_cbranch_execz .LBB32_61
; %bb.48:                               ;   in Loop: Header=BB32_15 Depth=1
	v_and_b32_e32 v28, 0x7fffffff, v20
	v_mov_b32_e32 v29, v13
	v_cmp_gt_u64_e32 vcc, s[6:7], v[28:29]
	s_and_saveexec_b64 s[0:1], vcc
	s_xor_b64 s[10:11], exec, s[0:1]
	s_cbranch_execz .LBB32_60
; %bb.49:                               ;   in Loop: Header=BB32_15 Depth=1
	v_cmp_ne_u32_e32 vcc, 0, v20
	v_mov_b32_e32 v6, 0
	s_and_saveexec_b64 s[16:17], vcc
	s_cbranch_execz .LBB32_59
; %bb.50:                               ;   in Loop: Header=BB32_15 Depth=1
	v_bfe_u32 v6, v20, 23, 8
	v_sub_u32_e64 v20, s18, v6 clamp
	v_cmp_eq_u32_e32 vcc, 0, v6
	v_add_u32_e32 v27, 0xffffff88, v6
	v_cndmask_b32_e32 v6, v20, v25, vcc
	v_or_b32_e32 v21, 0x800000, v12
	v_add_u32_e32 v20, 20, v6
	v_cndmask_b32_e32 v12, v21, v12, vcc
	v_lshlrev_b64 v[20:21], v20, -1
	v_not_b32_e32 v21, v21
	v_not_b32_e32 v20, v20
	v_add_u32_e32 v28, 19, v6
	v_and_b32_e32 v21, 0, v21
	v_and_b32_e32 v20, v12, v20
	v_lshlrev_b64 v[28:29], v28, 1
	v_cmp_eq_u64_e64 s[0:1], v[20:21], v[28:29]
	v_lshrrev_b64 v[20:21], v6, v[12:13]
	v_cndmask_b32_e32 v12, v27, v26, vcc
	v_lshrrev_b32_e32 v27, 23, v20
	v_add3_u32 v6, v12, v6, v27
	v_and_b32_e32 v12, 0x100000, v20
	v_cmp_eq_u64_e32 vcc, 0, v[12:13]
	s_and_b64 vcc, vcc, s[0:1]
	v_subbrev_co_u32_e32 v12, vcc, 0, v20, vcc
	v_and_b32_e32 v12, 0xfffff, v12
	v_add_co_u32_e32 v20, vcc, v12, v20
	v_add_u32_e32 v27, -1, v6
	v_addc_co_u32_e32 v21, vcc, 0, v21, vcc
	v_cmp_ne_u32_e32 vcc, 0, v27
                                        ; implicit-def: $vgpr12
	s_and_saveexec_b64 s[0:1], vcc
	s_xor_b64 s[0:1], exec, s[0:1]
; %bb.51:                               ;   in Loop: Header=BB32_15 Depth=1
	v_and_b32_e32 v12, 0x1000000, v20
	v_cmp_eq_u64_e32 vcc, 0, v[12:13]
	v_cndmask_b32_e32 v12, v6, v27, vcc
	v_bfe_u32 v6, v20, 24, 1
	v_lshrrev_b64 v[20:21], v6, v[20:21]
; %bb.52:                               ;   in Loop: Header=BB32_15 Depth=1
	s_andn2_saveexec_b64 s[0:1], s[0:1]
; %bb.53:                               ;   in Loop: Header=BB32_15 Depth=1
	v_bfe_u32 v12, v20, 23, 1
; %bb.54:                               ;   in Loop: Header=BB32_15 Depth=1
	s_or_b64 exec, exec, s[0:1]
	v_lshrrev_b64 v[20:21], 20, v[20:21]
	v_cmp_gt_i32_e32 vcc, 16, v12
	v_cndmask_b32_e32 v21, 0, v21, vcc
	v_cndmask_b32_e32 v20, 7, v20, vcc
	v_cmp_ne_u32_e32 vcc, 0, v12
	v_cmp_ne_u64_e64 s[0:1], 0, v[20:21]
	s_or_b64 s[0:1], vcc, s[0:1]
                                        ; implicit-def: $vgpr6
	s_and_saveexec_b64 s[22:23], s[0:1]
	s_xor_b64 s[0:1], exec, s[22:23]
; %bb.55:                               ;   in Loop: Header=BB32_15 Depth=1
	v_min_i32_e32 v6, 15, v12
	v_lshl_or_b32 v2, v6, 3, v2
	v_and_or_b32 v6, v20, 7, v2
                                        ; implicit-def: $vgpr2
; %bb.56:                               ;   in Loop: Header=BB32_15 Depth=1
	s_andn2_saveexec_b64 s[0:1], s[0:1]
; %bb.57:                               ;   in Loop: Header=BB32_15 Depth=1
	v_mov_b32_e32 v6, v2
; %bb.58:                               ;   in Loop: Header=BB32_15 Depth=1
	s_or_b64 exec, exec, s[0:1]
.LBB32_59:                              ;   in Loop: Header=BB32_15 Depth=1
	s_or_b64 exec, exec, s[16:17]
.LBB32_60:                              ;   in Loop: Header=BB32_15 Depth=1
	s_andn2_saveexec_b64 s[0:1], s[10:11]
	s_or_b64 exec, exec, s[0:1]
                                        ; implicit-def: $vgpr20
.LBB32_61:                              ;   in Loop: Header=BB32_15 Depth=1
	s_andn2_saveexec_b64 s[0:1], s[8:9]
; %bb.62:                               ;   in Loop: Header=BB32_15 Depth=1
	v_or_b32_sdwa v2, v20, s19 dst_sel:DWORD dst_unused:UNUSED_PAD src0_sel:BYTE_3 src1_sel:DWORD
	v_cmp_eq_u64_e32 vcc, 0, v[12:13]
	v_cndmask_b32_e32 v6, v2, v6, vcc
; %bb.63:                               ;   in Loop: Header=BB32_15 Depth=1
	s_or_b64 exec, exec, s[0:1]
	v_fma_mixlo_f16 v2, v22, v3, 0 op_sel:[0,1,0] op_sel_hi:[0,1,0]
	v_mul_f16_sdwa v2, v7, v2 dst_sel:DWORD dst_unused:UNUSED_PAD src0_sel:WORD_1 src1_sel:DWORD
	v_cvt_f32_f16_e32 v2, v2
	global_store_byte v[18:19], v6, off offset:2
	v_mov_b32_e32 v21, v13
	v_mul_f32_e32 v2, v23, v2
	v_min_f32_e32 v2, 0x43e00000, v2
	v_max_f32_e32 v2, 0xc3e00000, v2
	v_and_b32_sdwa v6, v2, s13 dst_sel:DWORD dst_unused:UNUSED_PAD src0_sel:BYTE_3 src1_sel:DWORD
	v_and_b32_e32 v20, 0x7f800000, v2
	v_and_b32_e32 v12, 0x7fffff, v2
	v_or_b32_e32 v3, 0x7e, v6
	v_cmp_ne_u64_e32 vcc, s[4:5], v[20:21]
	s_and_saveexec_b64 s[0:1], vcc
	s_xor_b64 s[8:9], exec, s[0:1]
	s_cbranch_execz .LBB32_77
; %bb.64:                               ;   in Loop: Header=BB32_15 Depth=1
	v_and_b32_e32 v20, 0x7fffffff, v2
	v_mov_b32_e32 v21, v13
	v_cmp_gt_u64_e32 vcc, s[6:7], v[20:21]
	s_and_saveexec_b64 s[0:1], vcc
	s_xor_b64 s[10:11], exec, s[0:1]
	s_cbranch_execz .LBB32_76
; %bb.65:                               ;   in Loop: Header=BB32_15 Depth=1
	v_cmp_ne_u32_e32 vcc, 0, v2
	v_mov_b32_e32 v3, 0
	s_and_saveexec_b64 s[16:17], vcc
	s_cbranch_execz .LBB32_75
; %bb.66:                               ;   in Loop: Header=BB32_15 Depth=1
	v_bfe_u32 v2, v2, 23, 8
	v_sub_u32_e64 v3, s18, v2 clamp
	v_cmp_eq_u32_e32 vcc, 0, v2
	v_cndmask_b32_e32 v28, v3, v25, vcc
	v_add_u32_e32 v27, 0xffffff88, v2
	v_add_u32_e32 v2, 20, v28
	v_or_b32_e32 v7, 0x800000, v12
	v_lshlrev_b64 v[2:3], v2, -1
	v_cndmask_b32_e32 v12, v7, v12, vcc
	v_not_b32_e32 v3, v3
	v_not_b32_e32 v2, v2
	v_add_u32_e32 v7, 19, v28
	v_and_b32_e32 v3, 0, v3
	v_and_b32_e32 v2, v12, v2
	v_lshlrev_b64 v[20:21], v7, 1
	v_cmp_eq_u64_e64 s[0:1], v[2:3], v[20:21]
	v_lshrrev_b64 v[2:3], v28, v[12:13]
	v_cndmask_b32_e32 v7, v27, v26, vcc
	v_lshrrev_b32_e32 v12, 23, v2
	v_add3_u32 v20, v7, v28, v12
	v_and_b32_e32 v12, 0x100000, v2
	v_cmp_eq_u64_e32 vcc, 0, v[12:13]
	s_and_b64 vcc, vcc, s[0:1]
	v_subbrev_co_u32_e32 v7, vcc, 0, v2, vcc
	v_and_b32_e32 v7, 0xfffff, v7
	v_add_co_u32_e32 v2, vcc, v7, v2
	v_add_u32_e32 v21, -1, v20
	v_addc_co_u32_e32 v3, vcc, 0, v3, vcc
	v_cmp_ne_u32_e32 vcc, 0, v21
                                        ; implicit-def: $vgpr7
	s_and_saveexec_b64 s[0:1], vcc
	s_xor_b64 s[0:1], exec, s[0:1]
; %bb.67:                               ;   in Loop: Header=BB32_15 Depth=1
	v_and_b32_e32 v12, 0x1000000, v2
	v_cmp_eq_u64_e32 vcc, 0, v[12:13]
	v_bfe_u32 v12, v2, 24, 1
	v_cndmask_b32_e32 v7, v20, v21, vcc
	v_lshrrev_b64 v[2:3], v12, v[2:3]
; %bb.68:                               ;   in Loop: Header=BB32_15 Depth=1
	s_andn2_saveexec_b64 s[0:1], s[0:1]
; %bb.69:                               ;   in Loop: Header=BB32_15 Depth=1
	v_bfe_u32 v7, v2, 23, 1
; %bb.70:                               ;   in Loop: Header=BB32_15 Depth=1
	s_or_b64 exec, exec, s[0:1]
	v_lshrrev_b64 v[2:3], 20, v[2:3]
	v_cmp_gt_i32_e32 vcc, 16, v7
	v_cndmask_b32_e32 v3, 0, v3, vcc
	v_cndmask_b32_e32 v2, 7, v2, vcc
	v_cmp_ne_u32_e32 vcc, 0, v7
	v_cmp_ne_u64_e64 s[0:1], 0, v[2:3]
	s_or_b64 s[0:1], vcc, s[0:1]
                                        ; implicit-def: $vgpr3
	s_and_saveexec_b64 s[22:23], s[0:1]
	s_xor_b64 s[0:1], exec, s[22:23]
; %bb.71:                               ;   in Loop: Header=BB32_15 Depth=1
	v_min_i32_e32 v3, 15, v7
	v_lshl_or_b32 v3, v3, 3, v6
	v_and_or_b32 v3, v2, 7, v3
                                        ; implicit-def: $vgpr6
; %bb.72:                               ;   in Loop: Header=BB32_15 Depth=1
	s_andn2_saveexec_b64 s[0:1], s[0:1]
; %bb.73:                               ;   in Loop: Header=BB32_15 Depth=1
	v_mov_b32_e32 v3, v6
; %bb.74:                               ;   in Loop: Header=BB32_15 Depth=1
	s_or_b64 exec, exec, s[0:1]
.LBB32_75:                              ;   in Loop: Header=BB32_15 Depth=1
	s_or_b64 exec, exec, s[16:17]
.LBB32_76:                              ;   in Loop: Header=BB32_15 Depth=1
	s_andn2_saveexec_b64 s[0:1], s[10:11]
	s_or_b64 exec, exec, s[0:1]
                                        ; implicit-def: $vgpr2
.LBB32_77:                              ;   in Loop: Header=BB32_15 Depth=1
	s_andn2_saveexec_b64 s[0:1], s[8:9]
; %bb.78:                               ;   in Loop: Header=BB32_15 Depth=1
	v_or_b32_sdwa v2, v2, s19 dst_sel:DWORD dst_unused:UNUSED_PAD src0_sel:BYTE_3 src1_sel:DWORD
	v_cmp_eq_u64_e32 vcc, 0, v[12:13]
	v_cndmask_b32_e32 v3, v2, v3, vcc
; %bb.79:                               ;   in Loop: Header=BB32_15 Depth=1
	s_or_b64 exec, exec, s[0:1]
	v_fma_mixlo_f16 v2, v22, v4, 0 op_sel_hi:[0,1,0]
	v_mul_f16_e32 v2, v8, v2
	v_cvt_f32_f16_e32 v2, v2
	v_mov_b32_e32 v21, v13
	global_store_byte v[18:19], v3, off offset:3
	v_mul_f32_e32 v2, v23, v2
	v_min_f32_e32 v2, 0x43e00000, v2
	v_max_f32_e32 v2, 0xc3e00000, v2
	v_and_b32_sdwa v6, v2, s13 dst_sel:DWORD dst_unused:UNUSED_PAD src0_sel:BYTE_3 src1_sel:DWORD
	v_and_b32_e32 v20, 0x7f800000, v2
	v_and_b32_e32 v12, 0x7fffff, v2
	v_or_b32_e32 v3, 0x7e, v6
	v_cmp_ne_u64_e32 vcc, s[4:5], v[20:21]
	s_and_saveexec_b64 s[0:1], vcc
	s_xor_b64 s[8:9], exec, s[0:1]
	s_cbranch_execz .LBB32_93
; %bb.80:                               ;   in Loop: Header=BB32_15 Depth=1
	v_and_b32_e32 v20, 0x7fffffff, v2
	v_mov_b32_e32 v21, v13
	v_cmp_gt_u64_e32 vcc, s[6:7], v[20:21]
	s_and_saveexec_b64 s[0:1], vcc
	s_xor_b64 s[10:11], exec, s[0:1]
	s_cbranch_execz .LBB32_92
; %bb.81:                               ;   in Loop: Header=BB32_15 Depth=1
	v_cmp_ne_u32_e32 vcc, 0, v2
	v_mov_b32_e32 v3, 0
	s_and_saveexec_b64 s[16:17], vcc
	s_cbranch_execz .LBB32_91
; %bb.82:                               ;   in Loop: Header=BB32_15 Depth=1
	v_bfe_u32 v2, v2, 23, 8
	v_sub_u32_e64 v3, s18, v2 clamp
	v_cmp_eq_u32_e32 vcc, 0, v2
	v_cndmask_b32_e32 v28, v3, v25, vcc
	v_add_u32_e32 v27, 0xffffff88, v2
	v_add_u32_e32 v2, 20, v28
	v_or_b32_e32 v7, 0x800000, v12
	v_lshlrev_b64 v[2:3], v2, -1
	v_cndmask_b32_e32 v12, v7, v12, vcc
	v_not_b32_e32 v3, v3
	v_not_b32_e32 v2, v2
	v_add_u32_e32 v7, 19, v28
	v_and_b32_e32 v3, 0, v3
	v_and_b32_e32 v2, v12, v2
	v_lshlrev_b64 v[20:21], v7, 1
	v_cmp_eq_u64_e64 s[0:1], v[2:3], v[20:21]
	v_lshrrev_b64 v[2:3], v28, v[12:13]
	v_cndmask_b32_e32 v7, v27, v26, vcc
	v_lshrrev_b32_e32 v12, 23, v2
	v_add3_u32 v20, v7, v28, v12
	v_and_b32_e32 v12, 0x100000, v2
	v_cmp_eq_u64_e32 vcc, 0, v[12:13]
	s_and_b64 vcc, vcc, s[0:1]
	v_subbrev_co_u32_e32 v7, vcc, 0, v2, vcc
	v_and_b32_e32 v7, 0xfffff, v7
	v_add_co_u32_e32 v2, vcc, v7, v2
	v_add_u32_e32 v21, -1, v20
	v_addc_co_u32_e32 v3, vcc, 0, v3, vcc
	v_cmp_ne_u32_e32 vcc, 0, v21
                                        ; implicit-def: $vgpr7
	s_and_saveexec_b64 s[0:1], vcc
	s_xor_b64 s[0:1], exec, s[0:1]
; %bb.83:                               ;   in Loop: Header=BB32_15 Depth=1
	v_and_b32_e32 v12, 0x1000000, v2
	v_cmp_eq_u64_e32 vcc, 0, v[12:13]
	v_bfe_u32 v12, v2, 24, 1
	v_cndmask_b32_e32 v7, v20, v21, vcc
	v_lshrrev_b64 v[2:3], v12, v[2:3]
; %bb.84:                               ;   in Loop: Header=BB32_15 Depth=1
	s_andn2_saveexec_b64 s[0:1], s[0:1]
; %bb.85:                               ;   in Loop: Header=BB32_15 Depth=1
	v_bfe_u32 v7, v2, 23, 1
; %bb.86:                               ;   in Loop: Header=BB32_15 Depth=1
	s_or_b64 exec, exec, s[0:1]
	v_lshrrev_b64 v[2:3], 20, v[2:3]
	v_cmp_gt_i32_e32 vcc, 16, v7
	v_cndmask_b32_e32 v3, 0, v3, vcc
	v_cndmask_b32_e32 v2, 7, v2, vcc
	v_cmp_ne_u32_e32 vcc, 0, v7
	v_cmp_ne_u64_e64 s[0:1], 0, v[2:3]
	s_or_b64 s[0:1], vcc, s[0:1]
                                        ; implicit-def: $vgpr3
	s_and_saveexec_b64 s[22:23], s[0:1]
	s_xor_b64 s[0:1], exec, s[22:23]
; %bb.87:                               ;   in Loop: Header=BB32_15 Depth=1
	v_min_i32_e32 v3, 15, v7
	v_lshl_or_b32 v3, v3, 3, v6
	v_and_or_b32 v3, v2, 7, v3
                                        ; implicit-def: $vgpr6
; %bb.88:                               ;   in Loop: Header=BB32_15 Depth=1
	s_andn2_saveexec_b64 s[0:1], s[0:1]
; %bb.89:                               ;   in Loop: Header=BB32_15 Depth=1
	v_mov_b32_e32 v3, v6
; %bb.90:                               ;   in Loop: Header=BB32_15 Depth=1
	s_or_b64 exec, exec, s[0:1]
.LBB32_91:                              ;   in Loop: Header=BB32_15 Depth=1
	s_or_b64 exec, exec, s[16:17]
.LBB32_92:                              ;   in Loop: Header=BB32_15 Depth=1
	s_andn2_saveexec_b64 s[0:1], s[10:11]
	s_or_b64 exec, exec, s[0:1]
                                        ; implicit-def: $vgpr2
.LBB32_93:                              ;   in Loop: Header=BB32_15 Depth=1
	s_andn2_saveexec_b64 s[0:1], s[8:9]
; %bb.94:                               ;   in Loop: Header=BB32_15 Depth=1
	v_or_b32_sdwa v2, v2, s19 dst_sel:DWORD dst_unused:UNUSED_PAD src0_sel:BYTE_3 src1_sel:DWORD
	v_cmp_eq_u64_e32 vcc, 0, v[12:13]
	v_cndmask_b32_e32 v3, v2, v3, vcc
; %bb.95:                               ;   in Loop: Header=BB32_15 Depth=1
	s_or_b64 exec, exec, s[0:1]
	v_fma_mixlo_f16 v2, v22, v4, 0 op_sel:[0,1,0] op_sel_hi:[0,1,0]
	v_mul_f16_sdwa v2, v8, v2 dst_sel:DWORD dst_unused:UNUSED_PAD src0_sel:WORD_1 src1_sel:DWORD
	v_cvt_f32_f16_e32 v2, v2
	v_mov_b32_e32 v7, v13
	global_store_byte v[18:19], v3, off offset:4
	v_mul_f32_e32 v2, v23, v2
	v_min_f32_e32 v2, 0x43e00000, v2
	v_max_f32_e32 v2, 0xc3e00000, v2
	v_and_b32_sdwa v4, v2, s13 dst_sel:DWORD dst_unused:UNUSED_PAD src0_sel:BYTE_3 src1_sel:DWORD
	v_and_b32_e32 v6, 0x7f800000, v2
	v_and_b32_e32 v12, 0x7fffff, v2
	v_or_b32_e32 v3, 0x7e, v4
	v_cmp_ne_u64_e32 vcc, s[4:5], v[6:7]
	s_and_saveexec_b64 s[0:1], vcc
	s_xor_b64 s[8:9], exec, s[0:1]
	s_cbranch_execz .LBB32_109
; %bb.96:                               ;   in Loop: Header=BB32_15 Depth=1
	v_and_b32_e32 v6, 0x7fffffff, v2
	v_mov_b32_e32 v7, v13
	v_cmp_gt_u64_e32 vcc, s[6:7], v[6:7]
	s_and_saveexec_b64 s[0:1], vcc
	s_xor_b64 s[10:11], exec, s[0:1]
	s_cbranch_execz .LBB32_108
; %bb.97:                               ;   in Loop: Header=BB32_15 Depth=1
	v_cmp_ne_u32_e32 vcc, 0, v2
	v_mov_b32_e32 v3, 0
	s_and_saveexec_b64 s[16:17], vcc
	s_cbranch_execz .LBB32_107
; %bb.98:                               ;   in Loop: Header=BB32_15 Depth=1
	v_bfe_u32 v2, v2, 23, 8
	v_sub_u32_e64 v3, s18, v2 clamp
	v_cmp_eq_u32_e32 vcc, 0, v2
	v_cndmask_b32_e32 v20, v3, v25, vcc
	v_add_u32_e32 v8, 0xffffff88, v2
	v_add_u32_e32 v2, 20, v20
	v_or_b32_e32 v6, 0x800000, v12
	v_lshlrev_b64 v[2:3], v2, -1
	v_cndmask_b32_e32 v12, v6, v12, vcc
	v_not_b32_e32 v3, v3
	v_not_b32_e32 v2, v2
	v_add_u32_e32 v6, 19, v20
	v_and_b32_e32 v3, 0, v3
	v_and_b32_e32 v2, v12, v2
	v_lshlrev_b64 v[6:7], v6, 1
	v_cmp_eq_u64_e64 s[0:1], v[2:3], v[6:7]
	v_lshrrev_b64 v[2:3], v20, v[12:13]
	v_and_b32_e32 v12, 0x100000, v2
	v_cndmask_b32_e32 v6, v8, v26, vcc
	v_cmp_eq_u64_e32 vcc, 0, v[12:13]
	v_lshrrev_b32_e32 v7, 23, v2
	s_and_b64 vcc, vcc, s[0:1]
	v_add3_u32 v7, v6, v20, v7
	v_subbrev_co_u32_e32 v6, vcc, 0, v2, vcc
	v_and_b32_e32 v6, 0xfffff, v6
	v_add_co_u32_e32 v2, vcc, v6, v2
	v_add_u32_e32 v8, -1, v7
	v_addc_co_u32_e32 v3, vcc, 0, v3, vcc
	v_cmp_ne_u32_e32 vcc, 0, v8
                                        ; implicit-def: $vgpr6
	s_and_saveexec_b64 s[0:1], vcc
	s_xor_b64 s[0:1], exec, s[0:1]
; %bb.99:                               ;   in Loop: Header=BB32_15 Depth=1
	v_and_b32_e32 v12, 0x1000000, v2
	v_cmp_eq_u64_e32 vcc, 0, v[12:13]
	v_cndmask_b32_e32 v6, v7, v8, vcc
	v_bfe_u32 v7, v2, 24, 1
	v_lshrrev_b64 v[2:3], v7, v[2:3]
; %bb.100:                              ;   in Loop: Header=BB32_15 Depth=1
	s_andn2_saveexec_b64 s[0:1], s[0:1]
; %bb.101:                              ;   in Loop: Header=BB32_15 Depth=1
	v_bfe_u32 v6, v2, 23, 1
; %bb.102:                              ;   in Loop: Header=BB32_15 Depth=1
	s_or_b64 exec, exec, s[0:1]
	v_lshrrev_b64 v[2:3], 20, v[2:3]
	v_cmp_gt_i32_e32 vcc, 16, v6
	v_cndmask_b32_e32 v3, 0, v3, vcc
	v_cndmask_b32_e32 v2, 7, v2, vcc
	v_cmp_ne_u32_e32 vcc, 0, v6
	v_cmp_ne_u64_e64 s[0:1], 0, v[2:3]
	s_or_b64 s[0:1], vcc, s[0:1]
                                        ; implicit-def: $vgpr3
	s_and_saveexec_b64 s[22:23], s[0:1]
	s_xor_b64 s[0:1], exec, s[22:23]
; %bb.103:                              ;   in Loop: Header=BB32_15 Depth=1
	v_min_i32_e32 v3, 15, v6
	v_lshl_or_b32 v3, v3, 3, v4
	v_and_or_b32 v3, v2, 7, v3
                                        ; implicit-def: $vgpr4
; %bb.104:                              ;   in Loop: Header=BB32_15 Depth=1
	s_andn2_saveexec_b64 s[0:1], s[0:1]
; %bb.105:                              ;   in Loop: Header=BB32_15 Depth=1
	v_mov_b32_e32 v3, v4
; %bb.106:                              ;   in Loop: Header=BB32_15 Depth=1
	s_or_b64 exec, exec, s[0:1]
.LBB32_107:                             ;   in Loop: Header=BB32_15 Depth=1
	s_or_b64 exec, exec, s[16:17]
.LBB32_108:                             ;   in Loop: Header=BB32_15 Depth=1
	s_andn2_saveexec_b64 s[0:1], s[10:11]
	s_or_b64 exec, exec, s[0:1]
                                        ; implicit-def: $vgpr2
.LBB32_109:                             ;   in Loop: Header=BB32_15 Depth=1
	s_andn2_saveexec_b64 s[0:1], s[8:9]
; %bb.110:                              ;   in Loop: Header=BB32_15 Depth=1
	v_or_b32_sdwa v2, v2, s19 dst_sel:DWORD dst_unused:UNUSED_PAD src0_sel:BYTE_3 src1_sel:DWORD
	v_cmp_eq_u64_e32 vcc, 0, v[12:13]
	v_cndmask_b32_e32 v3, v2, v3, vcc
; %bb.111:                              ;   in Loop: Header=BB32_15 Depth=1
	s_or_b64 exec, exec, s[0:1]
	v_fma_mixlo_f16 v2, v22, v5, 0 op_sel_hi:[0,1,0]
	v_mul_f16_e32 v2, v9, v2
	v_cvt_f32_f16_e32 v2, v2
	v_mov_b32_e32 v7, v13
	global_store_byte v[18:19], v3, off offset:5
	v_mul_f32_e32 v2, v23, v2
	v_min_f32_e32 v2, 0x43e00000, v2
	v_max_f32_e32 v2, 0xc3e00000, v2
	v_and_b32_sdwa v4, v2, s13 dst_sel:DWORD dst_unused:UNUSED_PAD src0_sel:BYTE_3 src1_sel:DWORD
	v_and_b32_e32 v6, 0x7f800000, v2
	v_and_b32_e32 v12, 0x7fffff, v2
	v_or_b32_e32 v3, 0x7e, v4
	v_cmp_ne_u64_e32 vcc, s[4:5], v[6:7]
	s_and_saveexec_b64 s[0:1], vcc
	s_xor_b64 s[8:9], exec, s[0:1]
	s_cbranch_execz .LBB32_125
; %bb.112:                              ;   in Loop: Header=BB32_15 Depth=1
	v_and_b32_e32 v6, 0x7fffffff, v2
	v_mov_b32_e32 v7, v13
	v_cmp_gt_u64_e32 vcc, s[6:7], v[6:7]
	s_and_saveexec_b64 s[0:1], vcc
	s_xor_b64 s[10:11], exec, s[0:1]
	s_cbranch_execz .LBB32_124
; %bb.113:                              ;   in Loop: Header=BB32_15 Depth=1
	v_cmp_ne_u32_e32 vcc, 0, v2
	v_mov_b32_e32 v3, 0
	s_and_saveexec_b64 s[16:17], vcc
	s_cbranch_execz .LBB32_123
; %bb.114:                              ;   in Loop: Header=BB32_15 Depth=1
	v_bfe_u32 v2, v2, 23, 8
	v_sub_u32_e64 v3, s18, v2 clamp
	v_cmp_eq_u32_e32 vcc, 0, v2
	v_cndmask_b32_e32 v20, v3, v25, vcc
	v_add_u32_e32 v8, 0xffffff88, v2
	v_add_u32_e32 v2, 20, v20
	v_or_b32_e32 v6, 0x800000, v12
	v_lshlrev_b64 v[2:3], v2, -1
	v_cndmask_b32_e32 v12, v6, v12, vcc
	v_not_b32_e32 v3, v3
	v_not_b32_e32 v2, v2
	v_add_u32_e32 v6, 19, v20
	v_and_b32_e32 v3, 0, v3
	v_and_b32_e32 v2, v12, v2
	v_lshlrev_b64 v[6:7], v6, 1
	v_cmp_eq_u64_e64 s[0:1], v[2:3], v[6:7]
	v_lshrrev_b64 v[2:3], v20, v[12:13]
	v_and_b32_e32 v12, 0x100000, v2
	v_cndmask_b32_e32 v6, v8, v26, vcc
	v_cmp_eq_u64_e32 vcc, 0, v[12:13]
	v_lshrrev_b32_e32 v7, 23, v2
	s_and_b64 vcc, vcc, s[0:1]
	v_add3_u32 v7, v6, v20, v7
	v_subbrev_co_u32_e32 v6, vcc, 0, v2, vcc
	v_and_b32_e32 v6, 0xfffff, v6
	v_add_co_u32_e32 v2, vcc, v6, v2
	v_add_u32_e32 v8, -1, v7
	v_addc_co_u32_e32 v3, vcc, 0, v3, vcc
	v_cmp_ne_u32_e32 vcc, 0, v8
                                        ; implicit-def: $vgpr6
	s_and_saveexec_b64 s[0:1], vcc
	s_xor_b64 s[0:1], exec, s[0:1]
; %bb.115:                              ;   in Loop: Header=BB32_15 Depth=1
	v_and_b32_e32 v12, 0x1000000, v2
	v_cmp_eq_u64_e32 vcc, 0, v[12:13]
	v_cndmask_b32_e32 v6, v7, v8, vcc
	v_bfe_u32 v7, v2, 24, 1
	v_lshrrev_b64 v[2:3], v7, v[2:3]
; %bb.116:                              ;   in Loop: Header=BB32_15 Depth=1
	s_andn2_saveexec_b64 s[0:1], s[0:1]
; %bb.117:                              ;   in Loop: Header=BB32_15 Depth=1
	v_bfe_u32 v6, v2, 23, 1
; %bb.118:                              ;   in Loop: Header=BB32_15 Depth=1
	s_or_b64 exec, exec, s[0:1]
	v_lshrrev_b64 v[2:3], 20, v[2:3]
	v_cmp_gt_i32_e32 vcc, 16, v6
	v_cndmask_b32_e32 v3, 0, v3, vcc
	v_cndmask_b32_e32 v2, 7, v2, vcc
	v_cmp_ne_u32_e32 vcc, 0, v6
	v_cmp_ne_u64_e64 s[0:1], 0, v[2:3]
	s_or_b64 s[0:1], vcc, s[0:1]
                                        ; implicit-def: $vgpr3
	s_and_saveexec_b64 s[22:23], s[0:1]
	s_xor_b64 s[0:1], exec, s[22:23]
; %bb.119:                              ;   in Loop: Header=BB32_15 Depth=1
	v_min_i32_e32 v3, 15, v6
	v_lshl_or_b32 v3, v3, 3, v4
	v_and_or_b32 v3, v2, 7, v3
                                        ; implicit-def: $vgpr4
; %bb.120:                              ;   in Loop: Header=BB32_15 Depth=1
	s_andn2_saveexec_b64 s[0:1], s[0:1]
; %bb.121:                              ;   in Loop: Header=BB32_15 Depth=1
	v_mov_b32_e32 v3, v4
; %bb.122:                              ;   in Loop: Header=BB32_15 Depth=1
	s_or_b64 exec, exec, s[0:1]
.LBB32_123:                             ;   in Loop: Header=BB32_15 Depth=1
	s_or_b64 exec, exec, s[16:17]
.LBB32_124:                             ;   in Loop: Header=BB32_15 Depth=1
	s_andn2_saveexec_b64 s[0:1], s[10:11]
	s_or_b64 exec, exec, s[0:1]
                                        ; implicit-def: $vgpr2
.LBB32_125:                             ;   in Loop: Header=BB32_15 Depth=1
	s_andn2_saveexec_b64 s[0:1], s[8:9]
; %bb.126:                              ;   in Loop: Header=BB32_15 Depth=1
	v_or_b32_sdwa v2, v2, s19 dst_sel:DWORD dst_unused:UNUSED_PAD src0_sel:BYTE_3 src1_sel:DWORD
	v_cmp_eq_u64_e32 vcc, 0, v[12:13]
	v_cndmask_b32_e32 v3, v2, v3, vcc
; %bb.127:                              ;   in Loop: Header=BB32_15 Depth=1
	s_or_b64 exec, exec, s[0:1]
	v_fma_mixlo_f16 v2, v22, v5, 0 op_sel:[0,1,0] op_sel_hi:[0,1,0]
	v_mul_f16_sdwa v2, v9, v2 dst_sel:DWORD dst_unused:UNUSED_PAD src0_sel:WORD_1 src1_sel:DWORD
	v_cvt_f32_f16_e32 v2, v2
	v_mov_b32_e32 v7, v13
	global_store_byte v[18:19], v3, off offset:6
	v_mul_f32_e32 v2, v23, v2
	v_min_f32_e32 v2, 0x43e00000, v2
	v_max_f32_e32 v2, 0xc3e00000, v2
	v_and_b32_sdwa v4, v2, s13 dst_sel:DWORD dst_unused:UNUSED_PAD src0_sel:BYTE_3 src1_sel:DWORD
	v_and_b32_e32 v6, 0x7f800000, v2
	v_and_b32_e32 v12, 0x7fffff, v2
	v_or_b32_e32 v3, 0x7e, v4
	v_cmp_ne_u64_e32 vcc, s[4:5], v[6:7]
	s_and_saveexec_b64 s[0:1], vcc
	s_xor_b64 s[8:9], exec, s[0:1]
	s_cbranch_execz .LBB32_141
; %bb.128:                              ;   in Loop: Header=BB32_15 Depth=1
	v_and_b32_e32 v6, 0x7fffffff, v2
	v_mov_b32_e32 v7, v13
	v_cmp_gt_u64_e32 vcc, s[6:7], v[6:7]
	s_and_saveexec_b64 s[0:1], vcc
	s_xor_b64 s[10:11], exec, s[0:1]
	s_cbranch_execz .LBB32_140
; %bb.129:                              ;   in Loop: Header=BB32_15 Depth=1
	v_cmp_ne_u32_e32 vcc, 0, v2
	v_mov_b32_e32 v3, 0
	s_and_saveexec_b64 s[16:17], vcc
	s_cbranch_execz .LBB32_139
; %bb.130:                              ;   in Loop: Header=BB32_15 Depth=1
	v_bfe_u32 v2, v2, 23, 8
	v_sub_u32_e64 v3, s18, v2 clamp
	v_cmp_eq_u32_e32 vcc, 0, v2
	v_cndmask_b32_e32 v9, v3, v25, vcc
	v_add_u32_e32 v8, 0xffffff88, v2
	v_add_u32_e32 v2, 20, v9
	v_or_b32_e32 v5, 0x800000, v12
	v_lshlrev_b64 v[2:3], v2, -1
	v_cndmask_b32_e32 v12, v5, v12, vcc
	v_not_b32_e32 v3, v3
	v_not_b32_e32 v2, v2
	v_add_u32_e32 v5, 19, v9
	v_and_b32_e32 v3, 0, v3
	v_and_b32_e32 v2, v12, v2
	v_lshlrev_b64 v[6:7], v5, 1
	v_cmp_eq_u64_e64 s[0:1], v[2:3], v[6:7]
	v_lshrrev_b64 v[2:3], v9, v[12:13]
	v_and_b32_e32 v12, 0x100000, v2
	v_cndmask_b32_e32 v5, v8, v26, vcc
	v_cmp_eq_u64_e32 vcc, 0, v[12:13]
	v_lshrrev_b32_e32 v6, 23, v2
	s_and_b64 vcc, vcc, s[0:1]
	v_add3_u32 v6, v5, v9, v6
	v_subbrev_co_u32_e32 v5, vcc, 0, v2, vcc
	v_and_b32_e32 v5, 0xfffff, v5
	v_add_co_u32_e32 v2, vcc, v5, v2
	v_add_u32_e32 v7, -1, v6
	v_addc_co_u32_e32 v3, vcc, 0, v3, vcc
	v_cmp_ne_u32_e32 vcc, 0, v7
                                        ; implicit-def: $vgpr5
	s_and_saveexec_b64 s[0:1], vcc
	s_xor_b64 s[0:1], exec, s[0:1]
; %bb.131:                              ;   in Loop: Header=BB32_15 Depth=1
	v_and_b32_e32 v12, 0x1000000, v2
	v_cmp_eq_u64_e32 vcc, 0, v[12:13]
	v_cndmask_b32_e32 v5, v6, v7, vcc
	v_bfe_u32 v6, v2, 24, 1
	v_lshrrev_b64 v[2:3], v6, v[2:3]
; %bb.132:                              ;   in Loop: Header=BB32_15 Depth=1
	s_andn2_saveexec_b64 s[0:1], s[0:1]
; %bb.133:                              ;   in Loop: Header=BB32_15 Depth=1
	v_bfe_u32 v5, v2, 23, 1
; %bb.134:                              ;   in Loop: Header=BB32_15 Depth=1
	s_or_b64 exec, exec, s[0:1]
	v_lshrrev_b64 v[2:3], 20, v[2:3]
	v_cmp_gt_i32_e32 vcc, 16, v5
	v_cndmask_b32_e32 v3, 0, v3, vcc
	v_cndmask_b32_e32 v2, 7, v2, vcc
	v_cmp_ne_u32_e32 vcc, 0, v5
	v_cmp_ne_u64_e64 s[0:1], 0, v[2:3]
	s_or_b64 s[0:1], vcc, s[0:1]
                                        ; implicit-def: $vgpr3
	s_and_saveexec_b64 s[22:23], s[0:1]
	s_xor_b64 s[0:1], exec, s[22:23]
; %bb.135:                              ;   in Loop: Header=BB32_15 Depth=1
	v_min_i32_e32 v3, 15, v5
	v_lshl_or_b32 v3, v3, 3, v4
	v_and_or_b32 v3, v2, 7, v3
                                        ; implicit-def: $vgpr4
; %bb.136:                              ;   in Loop: Header=BB32_15 Depth=1
	s_andn2_saveexec_b64 s[0:1], s[0:1]
; %bb.137:                              ;   in Loop: Header=BB32_15 Depth=1
	v_mov_b32_e32 v3, v4
; %bb.138:                              ;   in Loop: Header=BB32_15 Depth=1
	s_or_b64 exec, exec, s[0:1]
.LBB32_139:                             ;   in Loop: Header=BB32_15 Depth=1
	s_or_b64 exec, exec, s[16:17]
.LBB32_140:                             ;   in Loop: Header=BB32_15 Depth=1
	s_andn2_saveexec_b64 s[0:1], s[10:11]
	s_or_b64 exec, exec, s[0:1]
                                        ; implicit-def: $vgpr2
.LBB32_141:                             ;   in Loop: Header=BB32_15 Depth=1
	s_andn2_saveexec_b64 s[0:1], s[8:9]
	s_cbranch_execz .LBB32_14
; %bb.142:                              ;   in Loop: Header=BB32_15 Depth=1
	v_or_b32_sdwa v2, v2, s19 dst_sel:DWORD dst_unused:UNUSED_PAD src0_sel:BYTE_3 src1_sel:DWORD
	v_cmp_eq_u64_e32 vcc, 0, v[12:13]
	v_cndmask_b32_e32 v3, v2, v3, vcc
	s_branch .LBB32_14
.LBB32_143:
	s_endpgm
	.section	.rodata,"a",@progbits
	.p2align	6, 0x0
	.amdhsa_kernel _ZN4vllm42fused_add_rms_norm_static_fp8_quant_kernelIN3c104HalfELi8ENS1_13Float8_e4m3fnEEENSt9enable_ifIXaagtT0_Li0Esr12_typeConvertIT_EE6existsEvE4typeEPT1_PS5_iSA_PKS5_PKffii
		.amdhsa_group_segment_fixed_size 68
		.amdhsa_private_segment_fixed_size 0
		.amdhsa_kernarg_size 320
		.amdhsa_user_sgpr_count 6
		.amdhsa_user_sgpr_private_segment_buffer 1
		.amdhsa_user_sgpr_dispatch_ptr 0
		.amdhsa_user_sgpr_queue_ptr 0
		.amdhsa_user_sgpr_kernarg_segment_ptr 1
		.amdhsa_user_sgpr_dispatch_id 0
		.amdhsa_user_sgpr_flat_scratch_init 0
		.amdhsa_user_sgpr_kernarg_preload_length 0
		.amdhsa_user_sgpr_kernarg_preload_offset 0
		.amdhsa_user_sgpr_private_segment_size 0
		.amdhsa_uses_dynamic_stack 0
		.amdhsa_system_sgpr_private_segment_wavefront_offset 0
		.amdhsa_system_sgpr_workgroup_id_x 1
		.amdhsa_system_sgpr_workgroup_id_y 0
		.amdhsa_system_sgpr_workgroup_id_z 0
		.amdhsa_system_sgpr_workgroup_info 0
		.amdhsa_system_vgpr_workitem_id 0
		.amdhsa_next_free_vgpr 31
		.amdhsa_next_free_sgpr 25
		.amdhsa_accum_offset 32
		.amdhsa_reserve_vcc 1
		.amdhsa_reserve_flat_scratch 0
		.amdhsa_float_round_mode_32 0
		.amdhsa_float_round_mode_16_64 0
		.amdhsa_float_denorm_mode_32 3
		.amdhsa_float_denorm_mode_16_64 3
		.amdhsa_dx10_clamp 1
		.amdhsa_ieee_mode 1
		.amdhsa_fp16_overflow 0
		.amdhsa_tg_split 0
		.amdhsa_exception_fp_ieee_invalid_op 0
		.amdhsa_exception_fp_denorm_src 0
		.amdhsa_exception_fp_ieee_div_zero 0
		.amdhsa_exception_fp_ieee_overflow 0
		.amdhsa_exception_fp_ieee_underflow 0
		.amdhsa_exception_fp_ieee_inexact 0
		.amdhsa_exception_int_div_zero 0
	.end_amdhsa_kernel
	.section	.text._ZN4vllm42fused_add_rms_norm_static_fp8_quant_kernelIN3c104HalfELi8ENS1_13Float8_e4m3fnEEENSt9enable_ifIXaagtT0_Li0Esr12_typeConvertIT_EE6existsEvE4typeEPT1_PS5_iSA_PKS5_PKffii,"axG",@progbits,_ZN4vllm42fused_add_rms_norm_static_fp8_quant_kernelIN3c104HalfELi8ENS1_13Float8_e4m3fnEEENSt9enable_ifIXaagtT0_Li0Esr12_typeConvertIT_EE6existsEvE4typeEPT1_PS5_iSA_PKS5_PKffii,comdat
.Lfunc_end32:
	.size	_ZN4vllm42fused_add_rms_norm_static_fp8_quant_kernelIN3c104HalfELi8ENS1_13Float8_e4m3fnEEENSt9enable_ifIXaagtT0_Li0Esr12_typeConvertIT_EE6existsEvE4typeEPT1_PS5_iSA_PKS5_PKffii, .Lfunc_end32-_ZN4vllm42fused_add_rms_norm_static_fp8_quant_kernelIN3c104HalfELi8ENS1_13Float8_e4m3fnEEENSt9enable_ifIXaagtT0_Li0Esr12_typeConvertIT_EE6existsEvE4typeEPT1_PS5_iSA_PKS5_PKffii
                                        ; -- End function
	.section	.AMDGPU.csdata,"",@progbits
; Kernel info:
; codeLenInByte = 5336
; NumSgprs: 29
; NumVgprs: 31
; NumAgprs: 0
; TotalNumVgprs: 31
; ScratchSize: 0
; MemoryBound: 0
; FloatMode: 240
; IeeeMode: 1
; LDSByteSize: 68 bytes/workgroup (compile time only)
; SGPRBlocks: 3
; VGPRBlocks: 3
; NumSGPRsForWavesPerEU: 29
; NumVGPRsForWavesPerEU: 31
; AccumOffset: 32
; Occupancy: 8
; WaveLimiterHint : 0
; COMPUTE_PGM_RSRC2:SCRATCH_EN: 0
; COMPUTE_PGM_RSRC2:USER_SGPR: 6
; COMPUTE_PGM_RSRC2:TRAP_HANDLER: 0
; COMPUTE_PGM_RSRC2:TGID_X_EN: 1
; COMPUTE_PGM_RSRC2:TGID_Y_EN: 0
; COMPUTE_PGM_RSRC2:TGID_Z_EN: 0
; COMPUTE_PGM_RSRC2:TIDIG_COMP_CNT: 0
; COMPUTE_PGM_RSRC3_GFX90A:ACCUM_OFFSET: 7
; COMPUTE_PGM_RSRC3_GFX90A:TG_SPLIT: 0
	.section	.text._ZN4vllm42fused_add_rms_norm_static_fp8_quant_kernelIN3c104HalfELi8ENS1_15Float8_e4m3fnuzEEENSt9enable_ifIXaagtT0_Li0Esr12_typeConvertIT_EE6existsEvE4typeEPT1_PS5_iSA_PKS5_PKffii,"axG",@progbits,_ZN4vllm42fused_add_rms_norm_static_fp8_quant_kernelIN3c104HalfELi8ENS1_15Float8_e4m3fnuzEEENSt9enable_ifIXaagtT0_Li0Esr12_typeConvertIT_EE6existsEvE4typeEPT1_PS5_iSA_PKS5_PKffii,comdat
	.protected	_ZN4vllm42fused_add_rms_norm_static_fp8_quant_kernelIN3c104HalfELi8ENS1_15Float8_e4m3fnuzEEENSt9enable_ifIXaagtT0_Li0Esr12_typeConvertIT_EE6existsEvE4typeEPT1_PS5_iSA_PKS5_PKffii ; -- Begin function _ZN4vllm42fused_add_rms_norm_static_fp8_quant_kernelIN3c104HalfELi8ENS1_15Float8_e4m3fnuzEEENSt9enable_ifIXaagtT0_Li0Esr12_typeConvertIT_EE6existsEvE4typeEPT1_PS5_iSA_PKS5_PKffii
	.globl	_ZN4vllm42fused_add_rms_norm_static_fp8_quant_kernelIN3c104HalfELi8ENS1_15Float8_e4m3fnuzEEENSt9enable_ifIXaagtT0_Li0Esr12_typeConvertIT_EE6existsEvE4typeEPT1_PS5_iSA_PKS5_PKffii
	.p2align	8
	.type	_ZN4vllm42fused_add_rms_norm_static_fp8_quant_kernelIN3c104HalfELi8ENS1_15Float8_e4m3fnuzEEENSt9enable_ifIXaagtT0_Li0Esr12_typeConvertIT_EE6existsEvE4typeEPT1_PS5_iSA_PKS5_PKffii,@function
_ZN4vllm42fused_add_rms_norm_static_fp8_quant_kernelIN3c104HalfELi8ENS1_15Float8_e4m3fnuzEEENSt9enable_ifIXaagtT0_Li0Esr12_typeConvertIT_EE6existsEvE4typeEPT1_PS5_iSA_PKS5_PKffii: ; @_ZN4vllm42fused_add_rms_norm_static_fp8_quant_kernelIN3c104HalfELi8ENS1_15Float8_e4m3fnuzEEENSt9enable_ifIXaagtT0_Li0Esr12_typeConvertIT_EE6existsEvE4typeEPT1_PS5_iSA_PKS5_PKffii
; %bb.0:
	s_load_dword s22, s[4:5], 0x38
	s_load_dwordx2 s[12:13], s[4:5], 0x18
                                        ; implicit-def: $sgpr16
                                        ; implicit-def: $sgpr7
	s_waitcnt lgkmcnt(0)
	s_ashr_i32 s0, s22, 31
	s_lshr_b32 s0, s0, 29
	s_add_i32 s0, s22, s0
	s_ashr_i32 s20, s0, 3
	v_cmp_gt_i32_e64 s[0:1], s20, v0
	v_cmp_le_i32_e32 vcc, s20, v0
	s_and_saveexec_b64 s[2:3], vcc
	s_xor_b64 s[2:3], exec, s[2:3]
	s_cbranch_execz .LBB33_2
; %bb.1:
	s_load_dword s7, s[4:5], 0x4c
	s_mov_b32 s16, 0
	s_waitcnt lgkmcnt(0)
	s_and_b32 s7, s7, 0xffff
.LBB33_2:
	s_or_saveexec_b64 s[2:3], s[2:3]
	s_load_dwordx2 s[14:15], s[4:5], 0x0
	s_load_dwordx4 s[8:11], s[4:5], 0x20
	v_mov_b32_e32 v2, s16
	v_mov_b32_e32 v10, s7
	s_mul_i32 s21, s20, s6
	s_xor_b64 exec, exec, s[2:3]
	s_cbranch_execz .LBB33_6
; %bb.3:
	s_load_dword s23, s[4:5], 0x10
	s_load_dword s7, s[4:5], 0x4c
	s_load_dwordx2 s[16:17], s[4:5], 0x8
	s_mov_b64 s[18:19], 0
	v_mov_b32_e32 v2, 0
	s_waitcnt lgkmcnt(0)
	s_ashr_i32 s24, s23, 31
	s_lshr_b32 s24, s24, 29
	s_add_i32 s23, s23, s24
	s_ashr_i32 s23, s23, 3
	s_and_b32 s7, s7, 0xffff
	s_mul_i32 s6, s23, s6
	v_mov_b32_e32 v1, s17
	v_mov_b32_e32 v3, s13
	;; [unrolled: 1-line block ×3, first 2 shown]
.LBB33_4:                               ; =>This Inner Loop Header: Depth=1
	v_add_u32_e32 v6, s6, v4
	v_ashrrev_i32_e32 v7, 31, v6
	v_add_u32_e32 v8, s21, v4
	v_lshlrev_b64 v[6:7], 4, v[6:7]
	v_ashrrev_i32_e32 v9, 31, v8
	v_add_co_u32_e32 v14, vcc, s16, v6
	v_lshlrev_b64 v[8:9], 4, v[8:9]
	v_addc_co_u32_e32 v15, vcc, v1, v7, vcc
	v_add_co_u32_e32 v16, vcc, s12, v8
	v_addc_co_u32_e32 v17, vcc, v3, v9, vcc
	global_load_dwordx4 v[6:9], v[14:15], off
	global_load_dwordx4 v[10:13], v[16:17], off
	v_add_u32_e32 v4, s7, v4
	v_cmp_le_i32_e32 vcc, s20, v4
	s_or_b64 s[18:19], vcc, s[18:19]
	s_waitcnt vmcnt(0)
	v_pk_add_f16 v6, v6, v10
	v_pk_add_f16 v7, v7, v11
	;; [unrolled: 1-line block ×3, first 2 shown]
	v_cvt_f32_f16_sdwa v5, v6 dst_sel:DWORD dst_unused:UNUSED_PAD src0_sel:WORD_1
	v_cvt_f32_f16_sdwa v10, v7 dst_sel:DWORD dst_unused:UNUSED_PAD src0_sel:WORD_1
	v_pk_add_f16 v9, v9, v13
	v_cvt_f32_f16_sdwa v11, v8 dst_sel:DWORD dst_unused:UNUSED_PAD src0_sel:WORD_1
	v_cvt_f32_f16_sdwa v12, v9 dst_sel:DWORD dst_unused:UNUSED_PAD src0_sel:WORD_1
	v_mul_f32_e32 v5, v5, v5
	v_mul_f32_e32 v10, v10, v10
	global_store_dwordx4 v[16:17], v[6:9], off
	v_mul_f32_e32 v11, v11, v11
	v_fma_mix_f32 v5, v6, v6, v5 op_sel_hi:[1,1,0]
	v_fma_mix_f32 v6, v7, v7, v10 op_sel_hi:[1,1,0]
	v_mul_f32_e32 v12, v12, v12
	v_fma_mix_f32 v7, v8, v8, v11 op_sel_hi:[1,1,0]
	v_add_f32_e32 v5, v5, v6
	v_fma_mix_f32 v8, v9, v9, v12 op_sel_hi:[1,1,0]
	v_add_f32_e32 v5, v5, v7
	v_add_f32_e32 v5, v5, v8
	;; [unrolled: 1-line block ×3, first 2 shown]
	s_andn2_b64 exec, exec, s[18:19]
	s_cbranch_execnz .LBB33_4
; %bb.5:
	s_or_b64 exec, exec, s[18:19]
	v_mov_b32_e32 v10, s7
.LBB33_6:
	s_or_b64 exec, exec, s[2:3]
	v_mbcnt_lo_u32_b32 v1, -1, 0
	v_mbcnt_hi_u32_b32 v1, -1, v1
	v_and_b32_e32 v3, 63, v1
	v_cmp_ne_u32_e32 vcc, 63, v3
	v_addc_co_u32_e32 v4, vcc, 0, v1, vcc
	v_lshlrev_b32_e32 v4, 2, v4
	ds_bpermute_b32 v4, v4, v2
	v_and_b32_e32 v5, 0x3c0, v0
	v_sub_u32_e64 v5, v10, v5 clamp
	v_add_u32_e32 v6, 1, v1
	v_cmp_lt_u32_e32 vcc, v6, v5
	s_waitcnt lgkmcnt(0)
	v_add_f32_e32 v4, v2, v4
	v_cndmask_b32_e32 v2, v2, v4, vcc
	v_cmp_gt_u32_e32 vcc, 62, v3
	v_cndmask_b32_e64 v4, 0, 1, vcc
	v_lshlrev_b32_e32 v4, 1, v4
	v_add_lshl_u32 v4, v4, v1, 2
	ds_bpermute_b32 v4, v4, v2
	v_add_u32_e32 v6, 2, v1
	v_cmp_lt_u32_e32 vcc, v6, v5
	v_add_u32_e32 v6, 4, v1
	s_waitcnt lgkmcnt(0)
	v_add_f32_e32 v4, v2, v4
	v_cndmask_b32_e32 v2, v2, v4, vcc
	v_cmp_gt_u32_e32 vcc, 60, v3
	v_cndmask_b32_e64 v4, 0, 1, vcc
	v_lshlrev_b32_e32 v4, 2, v4
	v_add_lshl_u32 v4, v4, v1, 2
	ds_bpermute_b32 v4, v4, v2
	v_cmp_lt_u32_e32 vcc, v6, v5
	v_add_u32_e32 v6, 8, v1
	s_waitcnt lgkmcnt(0)
	v_add_f32_e32 v4, v2, v4
	v_cndmask_b32_e32 v2, v2, v4, vcc
	v_cmp_gt_u32_e32 vcc, 56, v3
	v_cndmask_b32_e64 v4, 0, 1, vcc
	v_lshlrev_b32_e32 v4, 3, v4
	v_add_lshl_u32 v4, v4, v1, 2
	ds_bpermute_b32 v4, v4, v2
	v_cmp_lt_u32_e32 vcc, v6, v5
	v_add_u32_e32 v6, 16, v1
	s_waitcnt lgkmcnt(0)
	v_add_f32_e32 v4, v2, v4
	v_cndmask_b32_e32 v2, v2, v4, vcc
	v_cmp_gt_u32_e32 vcc, 48, v3
	v_cndmask_b32_e64 v4, 0, 1, vcc
	v_lshlrev_b32_e32 v4, 4, v4
	v_add_lshl_u32 v4, v4, v1, 2
	ds_bpermute_b32 v4, v4, v2
	v_cmp_lt_u32_e32 vcc, v6, v5
	s_waitcnt lgkmcnt(0)
	v_add_f32_e32 v4, v2, v4
	v_cndmask_b32_e32 v2, v2, v4, vcc
	v_cmp_gt_u32_e32 vcc, 32, v3
	v_cndmask_b32_e64 v3, 0, 1, vcc
	v_lshlrev_b32_e32 v3, 5, v3
	v_add_lshl_u32 v3, v3, v1, 2
	ds_bpermute_b32 v3, v3, v2
	v_add_u32_e32 v4, 32, v1
	v_cmp_lt_u32_e32 vcc, v4, v5
	s_waitcnt lgkmcnt(0)
	v_add_f32_e32 v3, v2, v3
	v_cndmask_b32_e32 v2, v2, v3, vcc
	v_cmp_eq_u32_e32 vcc, 0, v1
	s_and_saveexec_b64 s[2:3], vcc
	s_cbranch_execz .LBB33_8
; %bb.7:
	v_lshrrev_b32_e32 v3, 4, v0
	v_and_b32_e32 v3, 60, v3
	ds_write_b32 v3, v2
.LBB33_8:
	s_or_b64 exec, exec, s[2:3]
	v_cmp_gt_u32_e32 vcc, 16, v0
	s_waitcnt lgkmcnt(0)
	s_barrier
	s_and_saveexec_b64 s[6:7], vcc
	s_cbranch_execz .LBB33_10
; %bb.9:
	v_lshlrev_b32_e32 v2, 2, v1
	ds_read_b32 v2, v2
	v_and_b32_e32 v3, 15, v1
	v_cmp_ne_u32_e32 vcc, 15, v3
	v_addc_co_u32_e32 v4, vcc, 0, v1, vcc
	v_lshlrev_b32_e32 v4, 2, v4
	s_waitcnt lgkmcnt(0)
	ds_bpermute_b32 v4, v4, v2
	v_add_u32_e32 v5, 63, v10
	v_lshrrev_b32_e32 v5, 6, v5
	v_add_u32_e32 v6, 1, v3
	v_cmp_gt_u32_e64 s[2:3], 14, v3
	v_cmp_lt_u32_e32 vcc, v6, v5
	v_cndmask_b32_e64 v6, 0, 1, s[2:3]
	s_waitcnt lgkmcnt(0)
	v_add_f32_e32 v4, v2, v4
	v_lshlrev_b32_e32 v6, 1, v6
	v_cndmask_b32_e32 v4, v2, v4, vcc
	v_add_lshl_u32 v6, v6, v1, 2
	ds_bpermute_b32 v6, v6, v4
	v_add_u32_e32 v7, 2, v3
	v_cmp_lt_u32_e64 s[2:3], v7, v5
	v_add_u32_e32 v7, 4, v3
	s_waitcnt lgkmcnt(0)
	v_add_f32_e32 v6, v4, v6
	v_cndmask_b32_e64 v4, v4, v6, s[2:3]
	v_cmp_gt_u32_e64 s[2:3], 12, v3
	v_cndmask_b32_e64 v6, 0, 1, s[2:3]
	v_lshlrev_b32_e32 v6, 2, v6
	v_add_lshl_u32 v6, v6, v1, 2
	ds_bpermute_b32 v6, v6, v4
	v_cmp_lt_u32_e64 s[2:3], v7, v5
	s_waitcnt lgkmcnt(0)
	v_add_f32_e32 v6, v4, v6
	v_cndmask_b32_e64 v4, v4, v6, s[2:3]
	v_cmp_gt_u32_e64 s[2:3], 8, v3
	v_cndmask_b32_e64 v6, 0, 1, s[2:3]
	v_lshlrev_b32_e32 v6, 3, v6
	v_add_lshl_u32 v1, v6, v1, 2
	ds_bpermute_b32 v1, v1, v4
	v_add_u32_e32 v3, 8, v3
	v_cmp_lt_u32_e64 s[2:3], v3, v5
	s_waitcnt lgkmcnt(0)
	v_add_f32_e32 v1, v4, v1
	v_cndmask_b32_e64 v1, v4, v1, s[2:3]
	v_cndmask_b32_e32 v2, v2, v1, vcc
.LBB33_10:
	s_or_b64 exec, exec, s[6:7]
	v_cmp_eq_u32_e32 vcc, 0, v0
	s_and_saveexec_b64 s[2:3], vcc
	s_cbranch_execz .LBB33_12
; %bb.11:
	v_cvt_f32_i32_e32 v1, s22
	s_load_dword s6, s[4:5], 0x30
	v_div_scale_f32 v3, s[4:5], v1, v1, v2
	v_rcp_f32_e32 v4, v3
	v_div_scale_f32 v5, vcc, v2, v1, v2
	s_mov_b32 s4, 0x800000
	v_fma_f32 v6, -v3, v4, 1.0
	v_fmac_f32_e32 v4, v6, v4
	v_mul_f32_e32 v6, v5, v4
	v_fma_f32 v7, -v3, v6, v5
	v_fmac_f32_e32 v6, v7, v4
	v_fma_f32 v3, -v3, v6, v5
	v_div_fmas_f32 v3, v3, v4, v6
	v_div_fixup_f32 v1, v3, v1, v2
	s_waitcnt lgkmcnt(0)
	v_add_f32_e32 v1, s6, v1
	v_mul_f32_e32 v2, 0x4b800000, v1
	v_cmp_gt_f32_e32 vcc, s4, v1
	v_cndmask_b32_e32 v1, v1, v2, vcc
	v_rsq_f32_e32 v1, v1
	v_mul_f32_e32 v2, 0x45800000, v1
	v_cndmask_b32_e32 v1, v1, v2, vcc
	v_mov_b32_e32 v2, 0
	ds_write_b32 v2, v1 offset:64
.LBB33_12:
	s_or_b64 exec, exec, s[2:3]
	s_waitcnt lgkmcnt(0)
	s_barrier
	s_and_saveexec_b64 s[2:3], s[0:1]
	s_cbranch_execz .LBB33_95
; %bb.13:
	s_load_dword s2, s[10:11], 0x0
	v_mov_b32_e32 v13, 0
	ds_read_b32 v22, v13 offset:64
	v_mov_b32_e32 v11, v13
	v_add_lshl_u32 v1, v0, s21, 3
	s_waitcnt lgkmcnt(0)
	v_div_scale_f32 v2, s[0:1], s2, s2, 1.0
	v_rcp_f32_e32 v3, v2
	v_div_scale_f32 v4, vcc, 1.0, s2, 1.0
	v_lshlrev_b32_e32 v24, 3, v10
	v_fma_f32 v5, -v2, v3, 1.0
	v_fmac_f32_e32 v3, v5, v3
	v_mul_f32_e32 v5, v4, v3
	v_fma_f32 v6, -v2, v5, v4
	v_fmac_f32_e32 v5, v6, v3
	v_fma_f32 v2, -v2, v5, v4
	v_div_fmas_f32 v2, v2, v3, v5
	v_div_fixup_f32 v23, v2, s2, 1.0
	v_lshlrev_b32_e32 v2, 4, v0
	v_mov_b32_e32 v3, s9
	v_add_co_u32_e32 v2, vcc, s8, v2
	v_addc_co_u32_e32 v3, vcc, 0, v3, vcc
	v_add_co_u32_e32 v14, vcc, 14, v2
	v_addc_co_u32_e32 v15, vcc, 0, v3, vcc
	v_lshlrev_b64 v[16:17], 4, v[10:11]
	s_mov_b64 s[2:3], 0
	v_mov_b32_e32 v11, s13
	s_movk_i32 s13, 0x7f
	s_mov_b64 s[4:5], 0x7f800000
	s_mov_b64 s[6:7], 0x43700001
	s_movk_i32 s18, 0x78
	s_movk_i32 s19, 0x80
	v_mov_b32_e32 v25, 0x77
	v_mov_b32_e32 v26, 0xffffff8a
	s_branch .LBB33_18
.LBB33_14:                              ;   in Loop: Header=BB33_18 Depth=1
	s_or_b64 exec, exec, s[0:1]
	v_lshrrev_b64 v[2:3], 20, v[2:3]
	v_cmp_gt_i32_e32 vcc, 16, v5
	v_and_b32_sdwa v4, v4, s19 dst_sel:DWORD dst_unused:UNUSED_PAD src0_sel:BYTE_3 src1_sel:DWORD
	v_min_i32_e32 v6, 15, v5
	v_cndmask_b32_e32 v3, 0, v3, vcc
	v_cndmask_b32_e32 v2, 7, v2, vcc
	v_cmp_eq_u32_e32 vcc, 0, v5
	v_cmp_eq_u64_e64 s[0:1], 0, v[2:3]
	v_lshl_or_b32 v3, v6, 3, v4
	v_and_or_b32 v2, v2, 7, v3
	s_and_b64 s[0:1], vcc, s[0:1]
	v_cndmask_b32_e64 v2, v2, 0, s[0:1]
.LBB33_15:                              ;   in Loop: Header=BB33_18 Depth=1
	s_or_b64 exec, exec, s[16:17]
.LBB33_16:                              ;   in Loop: Header=BB33_18 Depth=1
	s_andn2_saveexec_b64 s[0:1], s[10:11]
	s_or_b64 exec, exec, s[0:1]
.LBB33_17:                              ;   in Loop: Header=BB33_18 Depth=1
	s_andn2_saveexec_b64 s[0:1], s[8:9]
	s_or_b64 exec, exec, s[0:1]
	v_add_u32_e32 v0, v0, v10
	v_cmp_le_i32_e32 vcc, s20, v0
	s_or_b64 s[2:3], vcc, s[2:3]
	v_add_co_u32_e32 v14, vcc, v14, v16
	v_add_u32_e32 v1, v1, v24
	v_addc_co_u32_e32 v15, vcc, v15, v17, vcc
	global_store_byte v[18:19], v2, off offset:7
	s_andn2_b64 exec, exec, s[2:3]
	s_cbranch_execz .LBB33_95
.LBB33_18:                              ; =>This Inner Loop Header: Depth=1
	v_add_u32_e32 v2, s21, v0
	v_ashrrev_i32_e32 v3, 31, v2
	v_lshlrev_b64 v[2:3], 4, v[2:3]
	v_add_co_u32_e32 v18, vcc, s12, v2
	v_addc_co_u32_e32 v19, vcc, v11, v3, vcc
	global_load_dwordx4 v[2:5], v[18:19], off
	global_load_dwordx4 v[6:9], v[14:15], off offset:-14
	s_waitcnt vmcnt(1)
	v_fma_mixlo_f16 v12, v22, v2, 0 op_sel_hi:[0,1,0]
	s_waitcnt vmcnt(0)
	v_mul_f16_e32 v12, v6, v12
	v_cvt_f32_f16_e32 v12, v12
	v_mul_f32_e32 v12, v23, v12
	v_min_f32_e32 v12, 0x43600000, v12
	v_max_f32_e32 v20, 0xc3600000, v12
	v_and_b32_e32 v12, 0x7f800000, v20
	v_or_b32_sdwa v21, v20, s13 dst_sel:DWORD dst_unused:UNUSED_PAD src0_sel:BYTE_3 src1_sel:DWORD
	v_cmp_ne_u64_e32 vcc, s[4:5], v[12:13]
	s_and_saveexec_b64 s[0:1], vcc
	s_xor_b64 s[8:9], exec, s[0:1]
	s_cbranch_execz .LBB33_28
; %bb.19:                               ;   in Loop: Header=BB33_18 Depth=1
	v_and_b32_e32 v12, 0x7fffffff, v20
	v_cmp_gt_u64_e32 vcc, s[6:7], v[12:13]
	s_and_saveexec_b64 s[0:1], vcc
	s_xor_b64 s[10:11], exec, s[0:1]
	s_cbranch_execz .LBB33_27
; %bb.20:                               ;   in Loop: Header=BB33_18 Depth=1
	v_cmp_ne_u32_e32 vcc, 0, v20
	v_mov_b32_e32 v21, 0
	s_and_saveexec_b64 s[16:17], vcc
	s_cbranch_execz .LBB33_26
; %bb.21:                               ;   in Loop: Header=BB33_18 Depth=1
	v_bfe_u32 v18, v20, 23, 8
	v_sub_u32_e64 v19, s18, v18 clamp
	v_cmp_eq_u32_e32 vcc, 0, v18
	v_cndmask_b32_e32 v30, v19, v25, vcc
	v_and_b32_e32 v12, 0x7fffff, v20
	v_add_u32_e32 v27, 0xffffff89, v18
	v_add_u32_e32 v18, 20, v30
	v_or_b32_e32 v21, 0x800000, v12
	v_lshlrev_b64 v[18:19], v18, -1
	v_cndmask_b32_e32 v12, v21, v12, vcc
	v_not_b32_e32 v18, v18
	v_add_u32_e32 v21, 19, v30
	v_and_b32_e32 v18, v12, v18
	v_mov_b32_e32 v19, v13
	v_lshlrev_b64 v[28:29], v21, 1
	v_cmp_eq_u64_e64 s[0:1], v[18:19], v[28:29]
	v_lshrrev_b64 v[18:19], v30, v[12:13]
	v_cndmask_b32_e32 v12, v27, v26, vcc
	v_lshrrev_b32_e32 v21, 23, v18
	v_add3_u32 v21, v12, v30, v21
	v_and_b32_e32 v12, 0x100000, v18
	v_cmp_eq_u64_e32 vcc, 0, v[12:13]
	s_and_b64 vcc, vcc, s[0:1]
	v_subbrev_co_u32_e32 v12, vcc, 0, v18, vcc
	v_and_b32_e32 v12, 0xfffff, v12
	v_add_co_u32_e32 v18, vcc, v12, v18
	v_add_u32_e32 v27, -1, v21
	v_addc_co_u32_e32 v19, vcc, 0, v19, vcc
	v_cmp_ne_u32_e32 vcc, 0, v27
                                        ; implicit-def: $vgpr12
	s_and_saveexec_b64 s[0:1], vcc
	s_xor_b64 s[0:1], exec, s[0:1]
; %bb.22:                               ;   in Loop: Header=BB33_18 Depth=1
	v_and_b32_e32 v12, 0x1000000, v18
	v_cmp_eq_u64_e32 vcc, 0, v[12:13]
	v_cndmask_b32_e32 v12, v21, v27, vcc
	v_bfe_u32 v21, v18, 24, 1
	v_lshrrev_b64 v[18:19], v21, v[18:19]
; %bb.23:                               ;   in Loop: Header=BB33_18 Depth=1
	s_andn2_saveexec_b64 s[0:1], s[0:1]
; %bb.24:                               ;   in Loop: Header=BB33_18 Depth=1
	v_bfe_u32 v12, v18, 23, 1
; %bb.25:                               ;   in Loop: Header=BB33_18 Depth=1
	s_or_b64 exec, exec, s[0:1]
	v_lshrrev_b64 v[18:19], 20, v[18:19]
	v_cmp_gt_i32_e32 vcc, 16, v12
	v_and_b32_sdwa v20, v20, s19 dst_sel:DWORD dst_unused:UNUSED_PAD src0_sel:BYTE_3 src1_sel:DWORD
	v_min_i32_e32 v21, 15, v12
	v_cndmask_b32_e32 v19, 0, v19, vcc
	v_cndmask_b32_e32 v18, 7, v18, vcc
	v_cmp_eq_u32_e32 vcc, 0, v12
	v_cmp_eq_u64_e64 s[0:1], 0, v[18:19]
	v_lshl_or_b32 v12, v21, 3, v20
	v_and_or_b32 v12, v18, 7, v12
	s_and_b64 s[0:1], vcc, s[0:1]
	v_cndmask_b32_e64 v21, v12, 0, s[0:1]
.LBB33_26:                              ;   in Loop: Header=BB33_18 Depth=1
	s_or_b64 exec, exec, s[16:17]
.LBB33_27:                              ;   in Loop: Header=BB33_18 Depth=1
	s_andn2_saveexec_b64 s[0:1], s[10:11]
	s_or_b64 exec, exec, s[0:1]
.LBB33_28:                              ;   in Loop: Header=BB33_18 Depth=1
	s_andn2_saveexec_b64 s[0:1], s[8:9]
	s_or_b64 exec, exec, s[0:1]
	v_fma_mixlo_f16 v2, v22, v2, 0 op_sel:[0,1,0] op_sel_hi:[0,1,0]
	v_mul_f16_sdwa v2, v6, v2 dst_sel:DWORD dst_unused:UNUSED_PAD src0_sel:WORD_1 src1_sel:DWORD
	v_cvt_f32_f16_e32 v2, v2
	v_ashrrev_i32_e32 v12, 31, v1
	v_mov_b32_e32 v19, s15
	v_add_co_u32_e32 v18, vcc, s14, v1
	v_mul_f32_e32 v2, v23, v2
	v_min_f32_e32 v2, 0x43600000, v2
	v_max_f32_e32 v2, 0xc3600000, v2
	v_addc_co_u32_e32 v19, vcc, v19, v12, vcc
	v_and_b32_e32 v12, 0x7f800000, v2
	v_or_b32_sdwa v6, v2, s13 dst_sel:DWORD dst_unused:UNUSED_PAD src0_sel:BYTE_3 src1_sel:DWORD
	v_cmp_ne_u64_e32 vcc, s[4:5], v[12:13]
	global_store_byte v[18:19], v21, off
	s_and_saveexec_b64 s[0:1], vcc
	s_xor_b64 s[8:9], exec, s[0:1]
	s_cbranch_execz .LBB33_38
; %bb.29:                               ;   in Loop: Header=BB33_18 Depth=1
	v_and_b32_e32 v12, 0x7fffffff, v2
	v_cmp_gt_u64_e32 vcc, s[6:7], v[12:13]
	s_and_saveexec_b64 s[0:1], vcc
	s_xor_b64 s[10:11], exec, s[0:1]
	s_cbranch_execz .LBB33_37
; %bb.30:                               ;   in Loop: Header=BB33_18 Depth=1
	v_cmp_ne_u32_e32 vcc, 0, v2
	v_mov_b32_e32 v6, 0
	s_and_saveexec_b64 s[16:17], vcc
	s_cbranch_execz .LBB33_36
; %bb.31:                               ;   in Loop: Header=BB33_18 Depth=1
	v_bfe_u32 v12, v2, 23, 8
	v_and_b32_e32 v6, 0x7fffff, v2
	v_sub_u32_e64 v20, s18, v12 clamp
	v_cmp_eq_u32_e32 vcc, 0, v12
	v_or_b32_e32 v21, 0x800000, v6
	v_cndmask_b32_e32 v30, v20, v25, vcc
	v_add_u32_e32 v27, 0xffffff89, v12
	v_cndmask_b32_e32 v12, v21, v6, vcc
	v_add_u32_e32 v6, 20, v30
	v_lshlrev_b64 v[20:21], v6, -1
	v_not_b32_e32 v6, v20
	v_and_b32_e32 v20, v12, v6
	v_add_u32_e32 v6, 19, v30
	v_mov_b32_e32 v21, v13
	v_lshlrev_b64 v[28:29], v6, 1
	v_cmp_eq_u64_e64 s[0:1], v[20:21], v[28:29]
	v_lshrrev_b64 v[20:21], v30, v[12:13]
	v_cndmask_b32_e32 v6, v27, v26, vcc
	v_lshrrev_b32_e32 v12, 23, v20
	v_add3_u32 v27, v6, v30, v12
	v_and_b32_e32 v12, 0x100000, v20
	v_cmp_eq_u64_e32 vcc, 0, v[12:13]
	s_and_b64 vcc, vcc, s[0:1]
	v_subbrev_co_u32_e32 v6, vcc, 0, v20, vcc
	v_and_b32_e32 v6, 0xfffff, v6
	v_add_co_u32_e32 v20, vcc, v6, v20
	v_add_u32_e32 v28, -1, v27
	v_addc_co_u32_e32 v21, vcc, 0, v21, vcc
	v_cmp_ne_u32_e32 vcc, 0, v28
                                        ; implicit-def: $vgpr6
	s_and_saveexec_b64 s[0:1], vcc
	s_xor_b64 s[0:1], exec, s[0:1]
; %bb.32:                               ;   in Loop: Header=BB33_18 Depth=1
	v_and_b32_e32 v12, 0x1000000, v20
	v_cmp_eq_u64_e32 vcc, 0, v[12:13]
	v_bfe_u32 v12, v20, 24, 1
	v_cndmask_b32_e32 v6, v27, v28, vcc
	v_lshrrev_b64 v[20:21], v12, v[20:21]
; %bb.33:                               ;   in Loop: Header=BB33_18 Depth=1
	s_andn2_saveexec_b64 s[0:1], s[0:1]
; %bb.34:                               ;   in Loop: Header=BB33_18 Depth=1
	v_bfe_u32 v6, v20, 23, 1
; %bb.35:                               ;   in Loop: Header=BB33_18 Depth=1
	s_or_b64 exec, exec, s[0:1]
	v_lshrrev_b64 v[20:21], 20, v[20:21]
	v_cmp_gt_i32_e32 vcc, 16, v6
	v_and_b32_sdwa v2, v2, s19 dst_sel:DWORD dst_unused:UNUSED_PAD src0_sel:BYTE_3 src1_sel:DWORD
	v_min_i32_e32 v12, 15, v6
	v_cndmask_b32_e32 v21, 0, v21, vcc
	v_cndmask_b32_e32 v20, 7, v20, vcc
	v_cmp_eq_u32_e32 vcc, 0, v6
	v_cmp_eq_u64_e64 s[0:1], 0, v[20:21]
	v_lshl_or_b32 v2, v12, 3, v2
	v_and_or_b32 v2, v20, 7, v2
	s_and_b64 s[0:1], vcc, s[0:1]
	v_cndmask_b32_e64 v6, v2, 0, s[0:1]
.LBB33_36:                              ;   in Loop: Header=BB33_18 Depth=1
	s_or_b64 exec, exec, s[16:17]
.LBB33_37:                              ;   in Loop: Header=BB33_18 Depth=1
	s_andn2_saveexec_b64 s[0:1], s[10:11]
	s_or_b64 exec, exec, s[0:1]
.LBB33_38:                              ;   in Loop: Header=BB33_18 Depth=1
	s_andn2_saveexec_b64 s[0:1], s[8:9]
	s_or_b64 exec, exec, s[0:1]
	v_fma_mixlo_f16 v2, v22, v3, 0 op_sel_hi:[0,1,0]
	v_mul_f16_e32 v2, v7, v2
	v_cvt_f32_f16_e32 v2, v2
	global_store_byte v[18:19], v6, off offset:1
	v_mul_f32_e32 v2, v23, v2
	v_min_f32_e32 v2, 0x43600000, v2
	v_max_f32_e32 v2, 0xc3600000, v2
	v_and_b32_e32 v12, 0x7f800000, v2
	v_or_b32_sdwa v6, v2, s13 dst_sel:DWORD dst_unused:UNUSED_PAD src0_sel:BYTE_3 src1_sel:DWORD
	v_cmp_ne_u64_e32 vcc, s[4:5], v[12:13]
	s_and_saveexec_b64 s[0:1], vcc
	s_xor_b64 s[8:9], exec, s[0:1]
	s_cbranch_execz .LBB33_48
; %bb.39:                               ;   in Loop: Header=BB33_18 Depth=1
	v_and_b32_e32 v12, 0x7fffffff, v2
	v_cmp_gt_u64_e32 vcc, s[6:7], v[12:13]
	s_and_saveexec_b64 s[0:1], vcc
	s_xor_b64 s[10:11], exec, s[0:1]
	s_cbranch_execz .LBB33_47
; %bb.40:                               ;   in Loop: Header=BB33_18 Depth=1
	v_cmp_ne_u32_e32 vcc, 0, v2
	v_mov_b32_e32 v6, 0
	s_and_saveexec_b64 s[16:17], vcc
	s_cbranch_execz .LBB33_46
; %bb.41:                               ;   in Loop: Header=BB33_18 Depth=1
	v_bfe_u32 v12, v2, 23, 8
	v_and_b32_e32 v6, 0x7fffff, v2
	v_sub_u32_e64 v20, s18, v12 clamp
	v_cmp_eq_u32_e32 vcc, 0, v12
	v_or_b32_e32 v21, 0x800000, v6
	v_cndmask_b32_e32 v30, v20, v25, vcc
	v_add_u32_e32 v27, 0xffffff89, v12
	v_cndmask_b32_e32 v12, v21, v6, vcc
	v_add_u32_e32 v6, 20, v30
	v_lshlrev_b64 v[20:21], v6, -1
	v_not_b32_e32 v6, v20
	v_and_b32_e32 v20, v12, v6
	v_add_u32_e32 v6, 19, v30
	v_mov_b32_e32 v21, v13
	v_lshlrev_b64 v[28:29], v6, 1
	v_cmp_eq_u64_e64 s[0:1], v[20:21], v[28:29]
	v_lshrrev_b64 v[20:21], v30, v[12:13]
	v_cndmask_b32_e32 v6, v27, v26, vcc
	v_lshrrev_b32_e32 v12, 23, v20
	v_add3_u32 v27, v6, v30, v12
	v_and_b32_e32 v12, 0x100000, v20
	v_cmp_eq_u64_e32 vcc, 0, v[12:13]
	s_and_b64 vcc, vcc, s[0:1]
	v_subbrev_co_u32_e32 v6, vcc, 0, v20, vcc
	v_and_b32_e32 v6, 0xfffff, v6
	v_add_co_u32_e32 v20, vcc, v6, v20
	v_add_u32_e32 v28, -1, v27
	v_addc_co_u32_e32 v21, vcc, 0, v21, vcc
	v_cmp_ne_u32_e32 vcc, 0, v28
                                        ; implicit-def: $vgpr6
	s_and_saveexec_b64 s[0:1], vcc
	s_xor_b64 s[0:1], exec, s[0:1]
; %bb.42:                               ;   in Loop: Header=BB33_18 Depth=1
	v_and_b32_e32 v12, 0x1000000, v20
	v_cmp_eq_u64_e32 vcc, 0, v[12:13]
	v_bfe_u32 v12, v20, 24, 1
	v_cndmask_b32_e32 v6, v27, v28, vcc
	v_lshrrev_b64 v[20:21], v12, v[20:21]
; %bb.43:                               ;   in Loop: Header=BB33_18 Depth=1
	s_andn2_saveexec_b64 s[0:1], s[0:1]
; %bb.44:                               ;   in Loop: Header=BB33_18 Depth=1
	v_bfe_u32 v6, v20, 23, 1
; %bb.45:                               ;   in Loop: Header=BB33_18 Depth=1
	s_or_b64 exec, exec, s[0:1]
	v_lshrrev_b64 v[20:21], 20, v[20:21]
	v_cmp_gt_i32_e32 vcc, 16, v6
	v_and_b32_sdwa v2, v2, s19 dst_sel:DWORD dst_unused:UNUSED_PAD src0_sel:BYTE_3 src1_sel:DWORD
	v_min_i32_e32 v12, 15, v6
	v_cndmask_b32_e32 v21, 0, v21, vcc
	v_cndmask_b32_e32 v20, 7, v20, vcc
	v_cmp_eq_u32_e32 vcc, 0, v6
	v_cmp_eq_u64_e64 s[0:1], 0, v[20:21]
	v_lshl_or_b32 v2, v12, 3, v2
	v_and_or_b32 v2, v20, 7, v2
	s_and_b64 s[0:1], vcc, s[0:1]
	v_cndmask_b32_e64 v6, v2, 0, s[0:1]
.LBB33_46:                              ;   in Loop: Header=BB33_18 Depth=1
	s_or_b64 exec, exec, s[16:17]
.LBB33_47:                              ;   in Loop: Header=BB33_18 Depth=1
	s_andn2_saveexec_b64 s[0:1], s[10:11]
	s_or_b64 exec, exec, s[0:1]
.LBB33_48:                              ;   in Loop: Header=BB33_18 Depth=1
	s_andn2_saveexec_b64 s[0:1], s[8:9]
	s_or_b64 exec, exec, s[0:1]
	v_fma_mixlo_f16 v2, v22, v3, 0 op_sel:[0,1,0] op_sel_hi:[0,1,0]
	v_mul_f16_sdwa v2, v7, v2 dst_sel:DWORD dst_unused:UNUSED_PAD src0_sel:WORD_1 src1_sel:DWORD
	v_cvt_f32_f16_e32 v2, v2
	global_store_byte v[18:19], v6, off offset:2
	v_mul_f32_e32 v2, v23, v2
	v_min_f32_e32 v2, 0x43600000, v2
	v_max_f32_e32 v6, 0xc3600000, v2
	v_and_b32_e32 v12, 0x7f800000, v6
	v_or_b32_sdwa v2, v6, s13 dst_sel:DWORD dst_unused:UNUSED_PAD src0_sel:BYTE_3 src1_sel:DWORD
	v_cmp_ne_u64_e32 vcc, s[4:5], v[12:13]
	s_and_saveexec_b64 s[0:1], vcc
	s_xor_b64 s[8:9], exec, s[0:1]
	s_cbranch_execz .LBB33_58
; %bb.49:                               ;   in Loop: Header=BB33_18 Depth=1
	v_and_b32_e32 v12, 0x7fffffff, v6
	v_cmp_gt_u64_e32 vcc, s[6:7], v[12:13]
	s_and_saveexec_b64 s[0:1], vcc
	s_xor_b64 s[10:11], exec, s[0:1]
	s_cbranch_execz .LBB33_57
; %bb.50:                               ;   in Loop: Header=BB33_18 Depth=1
	v_cmp_ne_u32_e32 vcc, 0, v6
	v_mov_b32_e32 v2, 0
	s_and_saveexec_b64 s[16:17], vcc
	s_cbranch_execz .LBB33_56
; %bb.51:                               ;   in Loop: Header=BB33_18 Depth=1
	v_bfe_u32 v3, v6, 23, 8
	v_and_b32_e32 v2, 0x7fffff, v6
	v_sub_u32_e64 v7, s18, v3 clamp
	v_cmp_eq_u32_e32 vcc, 0, v3
	v_or_b32_e32 v12, 0x800000, v2
	v_cndmask_b32_e32 v7, v7, v25, vcc
	v_cndmask_b32_e32 v12, v12, v2, vcc
	v_add_u32_e32 v2, 20, v7
	v_add_u32_e32 v27, 0xffffff89, v3
	v_lshlrev_b64 v[2:3], v2, -1
	v_not_b32_e32 v2, v2
	v_add_u32_e32 v20, 19, v7
	v_and_b32_e32 v2, v12, v2
	v_mov_b32_e32 v3, v13
	v_lshlrev_b64 v[20:21], v20, 1
	v_cmp_eq_u64_e64 s[0:1], v[2:3], v[20:21]
	v_lshrrev_b64 v[2:3], v7, v[12:13]
	v_cndmask_b32_e32 v12, v27, v26, vcc
	v_lshrrev_b32_e32 v20, 23, v2
	v_add3_u32 v20, v12, v7, v20
	v_and_b32_e32 v12, 0x100000, v2
	v_cmp_eq_u64_e32 vcc, 0, v[12:13]
	s_and_b64 vcc, vcc, s[0:1]
	v_subbrev_co_u32_e32 v7, vcc, 0, v2, vcc
	v_and_b32_e32 v7, 0xfffff, v7
	v_add_co_u32_e32 v2, vcc, v7, v2
	v_add_u32_e32 v21, -1, v20
	v_addc_co_u32_e32 v3, vcc, 0, v3, vcc
	v_cmp_ne_u32_e32 vcc, 0, v21
                                        ; implicit-def: $vgpr7
	s_and_saveexec_b64 s[0:1], vcc
	s_xor_b64 s[0:1], exec, s[0:1]
; %bb.52:                               ;   in Loop: Header=BB33_18 Depth=1
	v_and_b32_e32 v12, 0x1000000, v2
	v_cmp_eq_u64_e32 vcc, 0, v[12:13]
	v_bfe_u32 v12, v2, 24, 1
	v_cndmask_b32_e32 v7, v20, v21, vcc
	v_lshrrev_b64 v[2:3], v12, v[2:3]
; %bb.53:                               ;   in Loop: Header=BB33_18 Depth=1
	s_andn2_saveexec_b64 s[0:1], s[0:1]
; %bb.54:                               ;   in Loop: Header=BB33_18 Depth=1
	v_bfe_u32 v7, v2, 23, 1
; %bb.55:                               ;   in Loop: Header=BB33_18 Depth=1
	s_or_b64 exec, exec, s[0:1]
	v_lshrrev_b64 v[2:3], 20, v[2:3]
	v_cmp_gt_i32_e32 vcc, 16, v7
	v_and_b32_sdwa v6, v6, s19 dst_sel:DWORD dst_unused:UNUSED_PAD src0_sel:BYTE_3 src1_sel:DWORD
	v_min_i32_e32 v12, 15, v7
	v_cndmask_b32_e32 v3, 0, v3, vcc
	v_cndmask_b32_e32 v2, 7, v2, vcc
	v_cmp_eq_u32_e32 vcc, 0, v7
	v_cmp_eq_u64_e64 s[0:1], 0, v[2:3]
	v_lshl_or_b32 v3, v12, 3, v6
	v_and_or_b32 v2, v2, 7, v3
	s_and_b64 s[0:1], vcc, s[0:1]
	v_cndmask_b32_e64 v2, v2, 0, s[0:1]
.LBB33_56:                              ;   in Loop: Header=BB33_18 Depth=1
	s_or_b64 exec, exec, s[16:17]
.LBB33_57:                              ;   in Loop: Header=BB33_18 Depth=1
	s_andn2_saveexec_b64 s[0:1], s[10:11]
	s_or_b64 exec, exec, s[0:1]
.LBB33_58:                              ;   in Loop: Header=BB33_18 Depth=1
	s_andn2_saveexec_b64 s[0:1], s[8:9]
	s_or_b64 exec, exec, s[0:1]
	v_fma_mixlo_f16 v3, v22, v4, 0 op_sel_hi:[0,1,0]
	v_mul_f16_e32 v3, v8, v3
	v_cvt_f32_f16_e32 v3, v3
	global_store_byte v[18:19], v2, off offset:3
	v_mul_f32_e32 v2, v23, v3
	v_min_f32_e32 v2, 0x43600000, v2
	v_max_f32_e32 v6, 0xc3600000, v2
	v_and_b32_e32 v12, 0x7f800000, v6
	v_or_b32_sdwa v2, v6, s13 dst_sel:DWORD dst_unused:UNUSED_PAD src0_sel:BYTE_3 src1_sel:DWORD
	v_cmp_ne_u64_e32 vcc, s[4:5], v[12:13]
	s_and_saveexec_b64 s[0:1], vcc
	s_xor_b64 s[8:9], exec, s[0:1]
	s_cbranch_execz .LBB33_68
; %bb.59:                               ;   in Loop: Header=BB33_18 Depth=1
	v_and_b32_e32 v12, 0x7fffffff, v6
	v_cmp_gt_u64_e32 vcc, s[6:7], v[12:13]
	s_and_saveexec_b64 s[0:1], vcc
	s_xor_b64 s[10:11], exec, s[0:1]
	s_cbranch_execz .LBB33_67
; %bb.60:                               ;   in Loop: Header=BB33_18 Depth=1
	v_cmp_ne_u32_e32 vcc, 0, v6
	v_mov_b32_e32 v2, 0
	s_and_saveexec_b64 s[16:17], vcc
	s_cbranch_execz .LBB33_66
; %bb.61:                               ;   in Loop: Header=BB33_18 Depth=1
	v_bfe_u32 v3, v6, 23, 8
	v_and_b32_e32 v2, 0x7fffff, v6
	v_sub_u32_e64 v7, s18, v3 clamp
	v_cmp_eq_u32_e32 vcc, 0, v3
	v_or_b32_e32 v12, 0x800000, v2
	v_cndmask_b32_e32 v7, v7, v25, vcc
	v_cndmask_b32_e32 v12, v12, v2, vcc
	v_add_u32_e32 v2, 20, v7
	v_add_u32_e32 v27, 0xffffff89, v3
	v_lshlrev_b64 v[2:3], v2, -1
	v_not_b32_e32 v2, v2
	v_add_u32_e32 v20, 19, v7
	v_and_b32_e32 v2, v12, v2
	v_mov_b32_e32 v3, v13
	v_lshlrev_b64 v[20:21], v20, 1
	v_cmp_eq_u64_e64 s[0:1], v[2:3], v[20:21]
	v_lshrrev_b64 v[2:3], v7, v[12:13]
	v_cndmask_b32_e32 v12, v27, v26, vcc
	v_lshrrev_b32_e32 v20, 23, v2
	v_add3_u32 v20, v12, v7, v20
	v_and_b32_e32 v12, 0x100000, v2
	v_cmp_eq_u64_e32 vcc, 0, v[12:13]
	s_and_b64 vcc, vcc, s[0:1]
	v_subbrev_co_u32_e32 v7, vcc, 0, v2, vcc
	v_and_b32_e32 v7, 0xfffff, v7
	v_add_co_u32_e32 v2, vcc, v7, v2
	v_add_u32_e32 v21, -1, v20
	v_addc_co_u32_e32 v3, vcc, 0, v3, vcc
	v_cmp_ne_u32_e32 vcc, 0, v21
                                        ; implicit-def: $vgpr7
	s_and_saveexec_b64 s[0:1], vcc
	s_xor_b64 s[0:1], exec, s[0:1]
; %bb.62:                               ;   in Loop: Header=BB33_18 Depth=1
	v_and_b32_e32 v12, 0x1000000, v2
	v_cmp_eq_u64_e32 vcc, 0, v[12:13]
	v_bfe_u32 v12, v2, 24, 1
	v_cndmask_b32_e32 v7, v20, v21, vcc
	v_lshrrev_b64 v[2:3], v12, v[2:3]
; %bb.63:                               ;   in Loop: Header=BB33_18 Depth=1
	s_andn2_saveexec_b64 s[0:1], s[0:1]
; %bb.64:                               ;   in Loop: Header=BB33_18 Depth=1
	v_bfe_u32 v7, v2, 23, 1
; %bb.65:                               ;   in Loop: Header=BB33_18 Depth=1
	s_or_b64 exec, exec, s[0:1]
	v_lshrrev_b64 v[2:3], 20, v[2:3]
	v_cmp_gt_i32_e32 vcc, 16, v7
	v_and_b32_sdwa v6, v6, s19 dst_sel:DWORD dst_unused:UNUSED_PAD src0_sel:BYTE_3 src1_sel:DWORD
	v_min_i32_e32 v12, 15, v7
	v_cndmask_b32_e32 v3, 0, v3, vcc
	v_cndmask_b32_e32 v2, 7, v2, vcc
	v_cmp_eq_u32_e32 vcc, 0, v7
	v_cmp_eq_u64_e64 s[0:1], 0, v[2:3]
	v_lshl_or_b32 v3, v12, 3, v6
	v_and_or_b32 v2, v2, 7, v3
	s_and_b64 s[0:1], vcc, s[0:1]
	v_cndmask_b32_e64 v2, v2, 0, s[0:1]
.LBB33_66:                              ;   in Loop: Header=BB33_18 Depth=1
	s_or_b64 exec, exec, s[16:17]
.LBB33_67:                              ;   in Loop: Header=BB33_18 Depth=1
	s_andn2_saveexec_b64 s[0:1], s[10:11]
	s_or_b64 exec, exec, s[0:1]
.LBB33_68:                              ;   in Loop: Header=BB33_18 Depth=1
	s_andn2_saveexec_b64 s[0:1], s[8:9]
	s_or_b64 exec, exec, s[0:1]
	v_fma_mixlo_f16 v3, v22, v4, 0 op_sel:[0,1,0] op_sel_hi:[0,1,0]
	v_mul_f16_sdwa v3, v8, v3 dst_sel:DWORD dst_unused:UNUSED_PAD src0_sel:WORD_1 src1_sel:DWORD
	v_cvt_f32_f16_e32 v3, v3
	global_store_byte v[18:19], v2, off offset:4
	v_mul_f32_e32 v2, v23, v3
	v_min_f32_e32 v2, 0x43600000, v2
	v_max_f32_e32 v4, 0xc3600000, v2
	v_and_b32_e32 v12, 0x7f800000, v4
	v_or_b32_sdwa v2, v4, s13 dst_sel:DWORD dst_unused:UNUSED_PAD src0_sel:BYTE_3 src1_sel:DWORD
	v_cmp_ne_u64_e32 vcc, s[4:5], v[12:13]
	s_and_saveexec_b64 s[0:1], vcc
	s_xor_b64 s[8:9], exec, s[0:1]
	s_cbranch_execz .LBB33_78
; %bb.69:                               ;   in Loop: Header=BB33_18 Depth=1
	v_and_b32_e32 v12, 0x7fffffff, v4
	v_cmp_gt_u64_e32 vcc, s[6:7], v[12:13]
	s_and_saveexec_b64 s[0:1], vcc
	s_xor_b64 s[10:11], exec, s[0:1]
	s_cbranch_execz .LBB33_77
; %bb.70:                               ;   in Loop: Header=BB33_18 Depth=1
	v_cmp_ne_u32_e32 vcc, 0, v4
	v_mov_b32_e32 v2, 0
	s_and_saveexec_b64 s[16:17], vcc
	s_cbranch_execz .LBB33_76
; %bb.71:                               ;   in Loop: Header=BB33_18 Depth=1
	v_bfe_u32 v3, v4, 23, 8
	v_and_b32_e32 v2, 0x7fffff, v4
	v_sub_u32_e64 v6, s18, v3 clamp
	v_cmp_eq_u32_e32 vcc, 0, v3
	v_or_b32_e32 v7, 0x800000, v2
	v_cndmask_b32_e32 v20, v6, v25, vcc
	v_cndmask_b32_e32 v12, v7, v2, vcc
	v_add_u32_e32 v2, 20, v20
	v_add_u32_e32 v8, 0xffffff89, v3
	v_lshlrev_b64 v[2:3], v2, -1
	v_not_b32_e32 v2, v2
	v_add_u32_e32 v6, 19, v20
	v_and_b32_e32 v2, v12, v2
	v_mov_b32_e32 v3, v13
	v_lshlrev_b64 v[6:7], v6, 1
	v_cmp_eq_u64_e64 s[0:1], v[2:3], v[6:7]
	v_lshrrev_b64 v[2:3], v20, v[12:13]
	v_and_b32_e32 v12, 0x100000, v2
	v_cndmask_b32_e32 v6, v8, v26, vcc
	v_cmp_eq_u64_e32 vcc, 0, v[12:13]
	v_lshrrev_b32_e32 v7, 23, v2
	s_and_b64 vcc, vcc, s[0:1]
	v_add3_u32 v7, v6, v20, v7
	v_subbrev_co_u32_e32 v6, vcc, 0, v2, vcc
	v_and_b32_e32 v6, 0xfffff, v6
	v_add_co_u32_e32 v2, vcc, v6, v2
	v_add_u32_e32 v8, -1, v7
	v_addc_co_u32_e32 v3, vcc, 0, v3, vcc
	v_cmp_ne_u32_e32 vcc, 0, v8
                                        ; implicit-def: $vgpr6
	s_and_saveexec_b64 s[0:1], vcc
	s_xor_b64 s[0:1], exec, s[0:1]
; %bb.72:                               ;   in Loop: Header=BB33_18 Depth=1
	v_and_b32_e32 v12, 0x1000000, v2
	v_cmp_eq_u64_e32 vcc, 0, v[12:13]
	v_cndmask_b32_e32 v6, v7, v8, vcc
	v_bfe_u32 v7, v2, 24, 1
	v_lshrrev_b64 v[2:3], v7, v[2:3]
; %bb.73:                               ;   in Loop: Header=BB33_18 Depth=1
	s_andn2_saveexec_b64 s[0:1], s[0:1]
; %bb.74:                               ;   in Loop: Header=BB33_18 Depth=1
	v_bfe_u32 v6, v2, 23, 1
; %bb.75:                               ;   in Loop: Header=BB33_18 Depth=1
	s_or_b64 exec, exec, s[0:1]
	v_lshrrev_b64 v[2:3], 20, v[2:3]
	v_cmp_gt_i32_e32 vcc, 16, v6
	v_and_b32_sdwa v4, v4, s19 dst_sel:DWORD dst_unused:UNUSED_PAD src0_sel:BYTE_3 src1_sel:DWORD
	v_min_i32_e32 v7, 15, v6
	v_cndmask_b32_e32 v3, 0, v3, vcc
	v_cndmask_b32_e32 v2, 7, v2, vcc
	v_cmp_eq_u32_e32 vcc, 0, v6
	v_cmp_eq_u64_e64 s[0:1], 0, v[2:3]
	v_lshl_or_b32 v3, v7, 3, v4
	v_and_or_b32 v2, v2, 7, v3
	s_and_b64 s[0:1], vcc, s[0:1]
	v_cndmask_b32_e64 v2, v2, 0, s[0:1]
.LBB33_76:                              ;   in Loop: Header=BB33_18 Depth=1
	s_or_b64 exec, exec, s[16:17]
.LBB33_77:                              ;   in Loop: Header=BB33_18 Depth=1
	s_andn2_saveexec_b64 s[0:1], s[10:11]
	s_or_b64 exec, exec, s[0:1]
.LBB33_78:                              ;   in Loop: Header=BB33_18 Depth=1
	s_andn2_saveexec_b64 s[0:1], s[8:9]
	s_or_b64 exec, exec, s[0:1]
	v_fma_mixlo_f16 v3, v22, v5, 0 op_sel_hi:[0,1,0]
	v_mul_f16_e32 v3, v9, v3
	v_cvt_f32_f16_e32 v3, v3
	global_store_byte v[18:19], v2, off offset:5
	v_mul_f32_e32 v2, v23, v3
	v_min_f32_e32 v2, 0x43600000, v2
	v_max_f32_e32 v4, 0xc3600000, v2
	v_and_b32_e32 v12, 0x7f800000, v4
	v_or_b32_sdwa v2, v4, s13 dst_sel:DWORD dst_unused:UNUSED_PAD src0_sel:BYTE_3 src1_sel:DWORD
	v_cmp_ne_u64_e32 vcc, s[4:5], v[12:13]
	s_and_saveexec_b64 s[0:1], vcc
	s_xor_b64 s[8:9], exec, s[0:1]
	s_cbranch_execz .LBB33_88
; %bb.79:                               ;   in Loop: Header=BB33_18 Depth=1
	v_and_b32_e32 v12, 0x7fffffff, v4
	v_cmp_gt_u64_e32 vcc, s[6:7], v[12:13]
	s_and_saveexec_b64 s[0:1], vcc
	s_xor_b64 s[10:11], exec, s[0:1]
	s_cbranch_execz .LBB33_87
; %bb.80:                               ;   in Loop: Header=BB33_18 Depth=1
	v_cmp_ne_u32_e32 vcc, 0, v4
	v_mov_b32_e32 v2, 0
	s_and_saveexec_b64 s[16:17], vcc
	s_cbranch_execz .LBB33_86
; %bb.81:                               ;   in Loop: Header=BB33_18 Depth=1
	v_bfe_u32 v3, v4, 23, 8
	v_and_b32_e32 v2, 0x7fffff, v4
	v_sub_u32_e64 v6, s18, v3 clamp
	v_cmp_eq_u32_e32 vcc, 0, v3
	v_or_b32_e32 v7, 0x800000, v2
	v_cndmask_b32_e32 v20, v6, v25, vcc
	v_cndmask_b32_e32 v12, v7, v2, vcc
	v_add_u32_e32 v2, 20, v20
	v_add_u32_e32 v8, 0xffffff89, v3
	v_lshlrev_b64 v[2:3], v2, -1
	v_not_b32_e32 v2, v2
	v_add_u32_e32 v6, 19, v20
	v_and_b32_e32 v2, v12, v2
	v_mov_b32_e32 v3, v13
	v_lshlrev_b64 v[6:7], v6, 1
	v_cmp_eq_u64_e64 s[0:1], v[2:3], v[6:7]
	v_lshrrev_b64 v[2:3], v20, v[12:13]
	v_and_b32_e32 v12, 0x100000, v2
	v_cndmask_b32_e32 v6, v8, v26, vcc
	v_cmp_eq_u64_e32 vcc, 0, v[12:13]
	v_lshrrev_b32_e32 v7, 23, v2
	s_and_b64 vcc, vcc, s[0:1]
	v_add3_u32 v7, v6, v20, v7
	v_subbrev_co_u32_e32 v6, vcc, 0, v2, vcc
	v_and_b32_e32 v6, 0xfffff, v6
	v_add_co_u32_e32 v2, vcc, v6, v2
	v_add_u32_e32 v8, -1, v7
	v_addc_co_u32_e32 v3, vcc, 0, v3, vcc
	v_cmp_ne_u32_e32 vcc, 0, v8
                                        ; implicit-def: $vgpr6
	s_and_saveexec_b64 s[0:1], vcc
	s_xor_b64 s[0:1], exec, s[0:1]
; %bb.82:                               ;   in Loop: Header=BB33_18 Depth=1
	v_and_b32_e32 v12, 0x1000000, v2
	v_cmp_eq_u64_e32 vcc, 0, v[12:13]
	v_cndmask_b32_e32 v6, v7, v8, vcc
	v_bfe_u32 v7, v2, 24, 1
	v_lshrrev_b64 v[2:3], v7, v[2:3]
; %bb.83:                               ;   in Loop: Header=BB33_18 Depth=1
	s_andn2_saveexec_b64 s[0:1], s[0:1]
; %bb.84:                               ;   in Loop: Header=BB33_18 Depth=1
	v_bfe_u32 v6, v2, 23, 1
; %bb.85:                               ;   in Loop: Header=BB33_18 Depth=1
	s_or_b64 exec, exec, s[0:1]
	v_lshrrev_b64 v[2:3], 20, v[2:3]
	v_cmp_gt_i32_e32 vcc, 16, v6
	v_and_b32_sdwa v4, v4, s19 dst_sel:DWORD dst_unused:UNUSED_PAD src0_sel:BYTE_3 src1_sel:DWORD
	v_min_i32_e32 v7, 15, v6
	v_cndmask_b32_e32 v3, 0, v3, vcc
	v_cndmask_b32_e32 v2, 7, v2, vcc
	v_cmp_eq_u32_e32 vcc, 0, v6
	v_cmp_eq_u64_e64 s[0:1], 0, v[2:3]
	v_lshl_or_b32 v3, v7, 3, v4
	v_and_or_b32 v2, v2, 7, v3
	s_and_b64 s[0:1], vcc, s[0:1]
	v_cndmask_b32_e64 v2, v2, 0, s[0:1]
.LBB33_86:                              ;   in Loop: Header=BB33_18 Depth=1
	s_or_b64 exec, exec, s[16:17]
.LBB33_87:                              ;   in Loop: Header=BB33_18 Depth=1
	s_andn2_saveexec_b64 s[0:1], s[10:11]
	s_or_b64 exec, exec, s[0:1]
.LBB33_88:                              ;   in Loop: Header=BB33_18 Depth=1
	s_andn2_saveexec_b64 s[0:1], s[8:9]
	s_or_b64 exec, exec, s[0:1]
	v_fma_mixlo_f16 v3, v22, v5, 0 op_sel:[0,1,0] op_sel_hi:[0,1,0]
	v_mul_f16_sdwa v3, v9, v3 dst_sel:DWORD dst_unused:UNUSED_PAD src0_sel:WORD_1 src1_sel:DWORD
	v_cvt_f32_f16_e32 v3, v3
	global_store_byte v[18:19], v2, off offset:6
	v_mul_f32_e32 v2, v23, v3
	v_min_f32_e32 v2, 0x43600000, v2
	v_max_f32_e32 v4, 0xc3600000, v2
	v_and_b32_e32 v12, 0x7f800000, v4
	v_or_b32_sdwa v2, v4, s13 dst_sel:DWORD dst_unused:UNUSED_PAD src0_sel:BYTE_3 src1_sel:DWORD
	v_cmp_ne_u64_e32 vcc, s[4:5], v[12:13]
	s_and_saveexec_b64 s[0:1], vcc
	s_xor_b64 s[8:9], exec, s[0:1]
	s_cbranch_execz .LBB33_17
; %bb.89:                               ;   in Loop: Header=BB33_18 Depth=1
	v_and_b32_e32 v12, 0x7fffffff, v4
	v_cmp_gt_u64_e32 vcc, s[6:7], v[12:13]
	s_and_saveexec_b64 s[0:1], vcc
	s_xor_b64 s[10:11], exec, s[0:1]
	s_cbranch_execz .LBB33_16
; %bb.90:                               ;   in Loop: Header=BB33_18 Depth=1
	v_cmp_ne_u32_e32 vcc, 0, v4
	v_mov_b32_e32 v2, 0
	s_and_saveexec_b64 s[16:17], vcc
	s_cbranch_execz .LBB33_15
; %bb.91:                               ;   in Loop: Header=BB33_18 Depth=1
	v_bfe_u32 v3, v4, 23, 8
	v_and_b32_e32 v2, 0x7fffff, v4
	v_sub_u32_e64 v5, s18, v3 clamp
	v_cmp_eq_u32_e32 vcc, 0, v3
	v_or_b32_e32 v6, 0x800000, v2
	v_cndmask_b32_e32 v5, v5, v25, vcc
	v_cndmask_b32_e32 v12, v6, v2, vcc
	v_add_u32_e32 v2, 20, v5
	v_add_u32_e32 v8, 0xffffff89, v3
	v_lshlrev_b64 v[2:3], v2, -1
	v_not_b32_e32 v2, v2
	v_add_u32_e32 v6, 19, v5
	v_and_b32_e32 v2, v12, v2
	v_mov_b32_e32 v3, v13
	v_lshlrev_b64 v[6:7], v6, 1
	v_cmp_eq_u64_e64 s[0:1], v[2:3], v[6:7]
	v_lshrrev_b64 v[2:3], v5, v[12:13]
	v_and_b32_e32 v12, 0x100000, v2
	v_cndmask_b32_e32 v6, v8, v26, vcc
	v_cmp_eq_u64_e32 vcc, 0, v[12:13]
	v_lshrrev_b32_e32 v7, 23, v2
	s_and_b64 vcc, vcc, s[0:1]
	v_add3_u32 v6, v6, v5, v7
	v_subbrev_co_u32_e32 v5, vcc, 0, v2, vcc
	v_and_b32_e32 v5, 0xfffff, v5
	v_add_co_u32_e32 v2, vcc, v5, v2
	v_add_u32_e32 v7, -1, v6
	v_addc_co_u32_e32 v3, vcc, 0, v3, vcc
	v_cmp_ne_u32_e32 vcc, 0, v7
                                        ; implicit-def: $vgpr5
	s_and_saveexec_b64 s[0:1], vcc
	s_xor_b64 s[0:1], exec, s[0:1]
; %bb.92:                               ;   in Loop: Header=BB33_18 Depth=1
	v_and_b32_e32 v12, 0x1000000, v2
	v_cmp_eq_u64_e32 vcc, 0, v[12:13]
	v_cndmask_b32_e32 v5, v6, v7, vcc
	v_bfe_u32 v6, v2, 24, 1
	v_lshrrev_b64 v[2:3], v6, v[2:3]
; %bb.93:                               ;   in Loop: Header=BB33_18 Depth=1
	s_andn2_saveexec_b64 s[0:1], s[0:1]
	s_cbranch_execz .LBB33_14
; %bb.94:                               ;   in Loop: Header=BB33_18 Depth=1
	v_bfe_u32 v5, v2, 23, 1
	s_branch .LBB33_14
.LBB33_95:
	s_endpgm
	.section	.rodata,"a",@progbits
	.p2align	6, 0x0
	.amdhsa_kernel _ZN4vllm42fused_add_rms_norm_static_fp8_quant_kernelIN3c104HalfELi8ENS1_15Float8_e4m3fnuzEEENSt9enable_ifIXaagtT0_Li0Esr12_typeConvertIT_EE6existsEvE4typeEPT1_PS5_iSA_PKS5_PKffii
		.amdhsa_group_segment_fixed_size 68
		.amdhsa_private_segment_fixed_size 0
		.amdhsa_kernarg_size 320
		.amdhsa_user_sgpr_count 6
		.amdhsa_user_sgpr_private_segment_buffer 1
		.amdhsa_user_sgpr_dispatch_ptr 0
		.amdhsa_user_sgpr_queue_ptr 0
		.amdhsa_user_sgpr_kernarg_segment_ptr 1
		.amdhsa_user_sgpr_dispatch_id 0
		.amdhsa_user_sgpr_flat_scratch_init 0
		.amdhsa_user_sgpr_kernarg_preload_length 0
		.amdhsa_user_sgpr_kernarg_preload_offset 0
		.amdhsa_user_sgpr_private_segment_size 0
		.amdhsa_uses_dynamic_stack 0
		.amdhsa_system_sgpr_private_segment_wavefront_offset 0
		.amdhsa_system_sgpr_workgroup_id_x 1
		.amdhsa_system_sgpr_workgroup_id_y 0
		.amdhsa_system_sgpr_workgroup_id_z 0
		.amdhsa_system_sgpr_workgroup_info 0
		.amdhsa_system_vgpr_workitem_id 0
		.amdhsa_next_free_vgpr 31
		.amdhsa_next_free_sgpr 25
		.amdhsa_accum_offset 32
		.amdhsa_reserve_vcc 1
		.amdhsa_reserve_flat_scratch 0
		.amdhsa_float_round_mode_32 0
		.amdhsa_float_round_mode_16_64 0
		.amdhsa_float_denorm_mode_32 3
		.amdhsa_float_denorm_mode_16_64 3
		.amdhsa_dx10_clamp 1
		.amdhsa_ieee_mode 1
		.amdhsa_fp16_overflow 0
		.amdhsa_tg_split 0
		.amdhsa_exception_fp_ieee_invalid_op 0
		.amdhsa_exception_fp_denorm_src 0
		.amdhsa_exception_fp_ieee_div_zero 0
		.amdhsa_exception_fp_ieee_overflow 0
		.amdhsa_exception_fp_ieee_underflow 0
		.amdhsa_exception_fp_ieee_inexact 0
		.amdhsa_exception_int_div_zero 0
	.end_amdhsa_kernel
	.section	.text._ZN4vllm42fused_add_rms_norm_static_fp8_quant_kernelIN3c104HalfELi8ENS1_15Float8_e4m3fnuzEEENSt9enable_ifIXaagtT0_Li0Esr12_typeConvertIT_EE6existsEvE4typeEPT1_PS5_iSA_PKS5_PKffii,"axG",@progbits,_ZN4vllm42fused_add_rms_norm_static_fp8_quant_kernelIN3c104HalfELi8ENS1_15Float8_e4m3fnuzEEENSt9enable_ifIXaagtT0_Li0Esr12_typeConvertIT_EE6existsEvE4typeEPT1_PS5_iSA_PKS5_PKffii,comdat
.Lfunc_end33:
	.size	_ZN4vllm42fused_add_rms_norm_static_fp8_quant_kernelIN3c104HalfELi8ENS1_15Float8_e4m3fnuzEEENSt9enable_ifIXaagtT0_Li0Esr12_typeConvertIT_EE6existsEvE4typeEPT1_PS5_iSA_PKS5_PKffii, .Lfunc_end33-_ZN4vllm42fused_add_rms_norm_static_fp8_quant_kernelIN3c104HalfELi8ENS1_15Float8_e4m3fnuzEEENSt9enable_ifIXaagtT0_Li0Esr12_typeConvertIT_EE6existsEvE4typeEPT1_PS5_iSA_PKS5_PKffii
                                        ; -- End function
	.section	.AMDGPU.csdata,"",@progbits
; Kernel info:
; codeLenInByte = 5016
; NumSgprs: 29
; NumVgprs: 31
; NumAgprs: 0
; TotalNumVgprs: 31
; ScratchSize: 0
; MemoryBound: 0
; FloatMode: 240
; IeeeMode: 1
; LDSByteSize: 68 bytes/workgroup (compile time only)
; SGPRBlocks: 3
; VGPRBlocks: 3
; NumSGPRsForWavesPerEU: 29
; NumVGPRsForWavesPerEU: 31
; AccumOffset: 32
; Occupancy: 8
; WaveLimiterHint : 0
; COMPUTE_PGM_RSRC2:SCRATCH_EN: 0
; COMPUTE_PGM_RSRC2:USER_SGPR: 6
; COMPUTE_PGM_RSRC2:TRAP_HANDLER: 0
; COMPUTE_PGM_RSRC2:TGID_X_EN: 1
; COMPUTE_PGM_RSRC2:TGID_Y_EN: 0
; COMPUTE_PGM_RSRC2:TGID_Z_EN: 0
; COMPUTE_PGM_RSRC2:TIDIG_COMP_CNT: 0
; COMPUTE_PGM_RSRC3_GFX90A:ACCUM_OFFSET: 7
; COMPUTE_PGM_RSRC3_GFX90A:TG_SPLIT: 0
	.section	.text._ZN4vllm42fused_add_rms_norm_static_fp8_quant_kernelIN3c108BFloat16ELi8ENS1_13Float8_e4m3fnEEENSt9enable_ifIXaagtT0_Li0Esr12_typeConvertIT_EE6existsEvE4typeEPT1_PS5_iSA_PKS5_PKffii,"axG",@progbits,_ZN4vllm42fused_add_rms_norm_static_fp8_quant_kernelIN3c108BFloat16ELi8ENS1_13Float8_e4m3fnEEENSt9enable_ifIXaagtT0_Li0Esr12_typeConvertIT_EE6existsEvE4typeEPT1_PS5_iSA_PKS5_PKffii,comdat
	.protected	_ZN4vllm42fused_add_rms_norm_static_fp8_quant_kernelIN3c108BFloat16ELi8ENS1_13Float8_e4m3fnEEENSt9enable_ifIXaagtT0_Li0Esr12_typeConvertIT_EE6existsEvE4typeEPT1_PS5_iSA_PKS5_PKffii ; -- Begin function _ZN4vllm42fused_add_rms_norm_static_fp8_quant_kernelIN3c108BFloat16ELi8ENS1_13Float8_e4m3fnEEENSt9enable_ifIXaagtT0_Li0Esr12_typeConvertIT_EE6existsEvE4typeEPT1_PS5_iSA_PKS5_PKffii
	.globl	_ZN4vllm42fused_add_rms_norm_static_fp8_quant_kernelIN3c108BFloat16ELi8ENS1_13Float8_e4m3fnEEENSt9enable_ifIXaagtT0_Li0Esr12_typeConvertIT_EE6existsEvE4typeEPT1_PS5_iSA_PKS5_PKffii
	.p2align	8
	.type	_ZN4vllm42fused_add_rms_norm_static_fp8_quant_kernelIN3c108BFloat16ELi8ENS1_13Float8_e4m3fnEEENSt9enable_ifIXaagtT0_Li0Esr12_typeConvertIT_EE6existsEvE4typeEPT1_PS5_iSA_PKS5_PKffii,@function
_ZN4vllm42fused_add_rms_norm_static_fp8_quant_kernelIN3c108BFloat16ELi8ENS1_13Float8_e4m3fnEEENSt9enable_ifIXaagtT0_Li0Esr12_typeConvertIT_EE6existsEvE4typeEPT1_PS5_iSA_PKS5_PKffii: ; @_ZN4vllm42fused_add_rms_norm_static_fp8_quant_kernelIN3c108BFloat16ELi8ENS1_13Float8_e4m3fnEEENSt9enable_ifIXaagtT0_Li0Esr12_typeConvertIT_EE6existsEvE4typeEPT1_PS5_iSA_PKS5_PKffii
; %bb.0:
	s_load_dword s22, s[4:5], 0x38
	s_load_dwordx2 s[12:13], s[4:5], 0x18
                                        ; implicit-def: $sgpr16
                                        ; implicit-def: $sgpr7
	s_waitcnt lgkmcnt(0)
	s_ashr_i32 s0, s22, 31
	s_lshr_b32 s0, s0, 29
	s_add_i32 s0, s22, s0
	s_ashr_i32 s20, s0, 3
	v_cmp_gt_i32_e64 s[0:1], s20, v0
	v_cmp_le_i32_e32 vcc, s20, v0
	s_and_saveexec_b64 s[2:3], vcc
	s_xor_b64 s[2:3], exec, s[2:3]
	s_cbranch_execz .LBB34_2
; %bb.1:
	s_load_dword s7, s[4:5], 0x4c
	s_mov_b32 s16, 0
	s_waitcnt lgkmcnt(0)
	s_and_b32 s7, s7, 0xffff
.LBB34_2:
	s_or_saveexec_b64 s[2:3], s[2:3]
	s_load_dwordx2 s[14:15], s[4:5], 0x0
	s_load_dwordx4 s[8:11], s[4:5], 0x20
	v_mov_b32_e32 v1, s16
	v_mov_b32_e32 v10, s7
	s_mul_i32 s21, s20, s6
	s_xor_b64 exec, exec, s[2:3]
	s_cbranch_execz .LBB34_38
; %bb.3:
	s_load_dword s7, s[4:5], 0x10
	s_load_dword s23, s[4:5], 0x4c
	s_load_dwordx2 s[16:17], s[4:5], 0x8
	s_mov_b64 s[18:19], 0
	v_mov_b32_e32 v10, 0
	s_waitcnt lgkmcnt(0)
	s_ashr_i32 s24, s7, 31
	s_lshr_b32 s24, s24, 29
	s_add_i32 s7, s7, s24
	s_ashr_i32 s24, s7, 3
	s_and_b32 s23, s23, 0xffff
	s_mul_i32 s24, s24, s6
	v_mov_b32_e32 v11, s17
	v_mov_b32_e32 v12, s13
	s_mov_b32 s17, 0x7f800000
	s_movk_i32 s25, 0x7fff
	s_mov_b32 s26, 0x7060302
	v_mov_b32_e32 v1, 0
	v_mov_b32_e32 v13, v0
	s_branch .LBB34_5
.LBB34_4:                               ;   in Loop: Header=BB34_5 Depth=1
	s_or_b64 exec, exec, s[6:7]
	v_and_b32_e32 v19, 0xffff0000, v8
	v_and_b32_e32 v18, 0xffff0000, v15
	;; [unrolled: 1-line block ×4, first 2 shown]
	v_pk_mul_f32 v[18:19], v[18:19], v[18:19]
	v_and_b32_e32 v21, 0xffff0000, v5
	v_and_b32_e32 v20, 0xffff0000, v4
	v_pk_fma_f32 v[2:3], v[2:3], v[2:3], v[18:19]
	v_and_b32_e32 v19, 0xffff0000, v17
	v_and_b32_e32 v18, 0xffff0000, v9
	v_pk_mul_f32 v[20:21], v[20:21], v[20:21]
	v_pk_fma_f32 v[18:19], v[18:19], v[18:19], v[20:21]
	v_add_f32_e32 v2, v2, v3
	v_add_f32_e32 v2, v2, v18
	v_add_u32_e32 v13, s23, v13
	v_add_f32_e32 v2, v2, v19
	v_cmp_le_i32_e32 vcc, s20, v13
	v_add_f32_e32 v1, v1, v2
	v_perm_b32 v5, v5, v17, s26
	v_perm_b32 v4, v4, v9, s26
	;; [unrolled: 1-line block ×4, first 2 shown]
	s_or_b64 s[18:19], vcc, s[18:19]
	global_store_dwordx4 v[6:7], v[2:5], off
	s_andn2_b64 exec, exec, s[18:19]
	s_cbranch_execz .LBB34_37
.LBB34_5:                               ; =>This Inner Loop Header: Depth=1
	v_add_u32_e32 v2, s24, v13
	v_ashrrev_i32_e32 v3, 31, v2
	v_add_u32_e32 v4, s21, v13
	v_lshlrev_b64 v[2:3], 4, v[2:3]
	v_add_co_u32_e32 v8, vcc, s16, v2
	v_ashrrev_i32_e32 v5, 31, v4
	v_addc_co_u32_e32 v9, vcc, v11, v3, vcc
	v_lshlrev_b64 v[2:3], 4, v[4:5]
	v_add_co_u32_e32 v6, vcc, s12, v2
	v_addc_co_u32_e32 v7, vcc, v12, v3, vcc
	global_load_dword v15, v[6:7], off
	global_load_dwordx4 v[2:5], v[8:9], off
	s_waitcnt vmcnt(1)
	v_lshlrev_b32_e32 v8, 16, v15
	s_waitcnt vmcnt(0)
	v_lshlrev_b32_e32 v14, 16, v2
	v_pk_add_f32 v[8:9], v[8:9], v[14:15] op_sel_hi:[0,1]
	v_and_b32_e32 v9, 0x7f800000, v8
	v_cmp_ne_u32_e32 vcc, s17, v9
                                        ; implicit-def: $vgpr14
	s_and_saveexec_b64 s[6:7], vcc
	s_xor_b64 s[6:7], exec, s[6:7]
; %bb.6:                                ;   in Loop: Header=BB34_5 Depth=1
	v_bfe_u32 v9, v8, 16, 1
	v_add3_u32 v14, v8, v9, s25
                                        ; implicit-def: $vgpr8_vgpr9
; %bb.7:                                ;   in Loop: Header=BB34_5 Depth=1
	s_andn2_saveexec_b64 s[6:7], s[6:7]
; %bb.8:                                ;   in Loop: Header=BB34_5 Depth=1
	v_or_b32_e32 v9, 0x10000, v8
	v_cmp_eq_u32_sdwa vcc, v8, v10 src0_sel:WORD_0 src1_sel:DWORD
	v_cndmask_b32_e32 v14, v9, v8, vcc
; %bb.9:                                ;   in Loop: Header=BB34_5 Depth=1
	s_or_b64 exec, exec, s[6:7]
	v_and_b32_e32 v8, 0xffff0000, v15
	v_and_b32_e32 v2, 0xffff0000, v2
	v_pk_add_f32 v[8:9], v[8:9], v[2:3] op_sel_hi:[0,1]
	v_and_b32_e32 v2, 0x7f800000, v8
	v_cmp_ne_u32_e32 vcc, s17, v2
                                        ; implicit-def: $vgpr15
	s_and_saveexec_b64 s[6:7], vcc
	s_xor_b64 s[6:7], exec, s[6:7]
; %bb.10:                               ;   in Loop: Header=BB34_5 Depth=1
	v_bfe_u32 v2, v8, 16, 1
	v_add3_u32 v15, v8, v2, s25
                                        ; implicit-def: $vgpr8_vgpr9
; %bb.11:                               ;   in Loop: Header=BB34_5 Depth=1
	s_andn2_saveexec_b64 s[6:7], s[6:7]
; %bb.12:                               ;   in Loop: Header=BB34_5 Depth=1
	v_or_b32_e32 v2, 0x10000, v8
	v_cmp_eq_u32_sdwa vcc, v8, v10 src0_sel:WORD_0 src1_sel:DWORD
	v_cndmask_b32_e32 v15, v2, v8, vcc
; %bb.13:                               ;   in Loop: Header=BB34_5 Depth=1
	s_or_b64 exec, exec, s[6:7]
	global_load_dword v2, v[6:7], off offset:4
	v_lshlrev_b32_e32 v16, 16, v3
	s_waitcnt vmcnt(0)
	v_lshlrev_b32_e32 v8, 16, v2
	v_pk_add_f32 v[8:9], v[8:9], v[16:17] op_sel_hi:[0,1]
	v_and_b32_e32 v9, 0x7f800000, v8
	v_cmp_ne_u32_e32 vcc, s17, v9
                                        ; implicit-def: $vgpr16
	s_and_saveexec_b64 s[6:7], vcc
	s_xor_b64 s[6:7], exec, s[6:7]
; %bb.14:                               ;   in Loop: Header=BB34_5 Depth=1
	v_bfe_u32 v9, v8, 16, 1
	v_add3_u32 v16, v8, v9, s25
                                        ; implicit-def: $vgpr8_vgpr9
; %bb.15:                               ;   in Loop: Header=BB34_5 Depth=1
	s_andn2_saveexec_b64 s[6:7], s[6:7]
; %bb.16:                               ;   in Loop: Header=BB34_5 Depth=1
	v_or_b32_e32 v9, 0x10000, v8
	v_cmp_eq_u32_sdwa vcc, v8, v10 src0_sel:WORD_0 src1_sel:DWORD
	v_cndmask_b32_e32 v16, v9, v8, vcc
; %bb.17:                               ;   in Loop: Header=BB34_5 Depth=1
	s_or_b64 exec, exec, s[6:7]
	v_and_b32_e32 v2, 0xffff0000, v2
	v_and_b32_e32 v8, 0xffff0000, v3
	v_pk_add_f32 v[2:3], v[2:3], v[8:9] op_sel_hi:[0,1]
	v_and_b32_e32 v3, 0x7f800000, v2
	v_cmp_ne_u32_e32 vcc, s17, v3
                                        ; implicit-def: $vgpr8
	s_and_saveexec_b64 s[6:7], vcc
	s_xor_b64 s[6:7], exec, s[6:7]
; %bb.18:                               ;   in Loop: Header=BB34_5 Depth=1
	v_bfe_u32 v3, v2, 16, 1
	v_add3_u32 v8, v2, v3, s25
                                        ; implicit-def: $vgpr2_vgpr3
; %bb.19:                               ;   in Loop: Header=BB34_5 Depth=1
	s_andn2_saveexec_b64 s[6:7], s[6:7]
; %bb.20:                               ;   in Loop: Header=BB34_5 Depth=1
	v_or_b32_e32 v3, 0x10000, v2
	v_cmp_eq_u32_sdwa vcc, v2, v10 src0_sel:WORD_0 src1_sel:DWORD
	v_cndmask_b32_e32 v8, v3, v2, vcc
; %bb.21:                               ;   in Loop: Header=BB34_5 Depth=1
	s_or_b64 exec, exec, s[6:7]
	global_load_dword v17, v[6:7], off offset:8
	v_lshlrev_b32_e32 v18, 16, v4
                                        ; implicit-def: $vgpr9
	s_waitcnt vmcnt(0)
	v_lshlrev_b32_e32 v2, 16, v17
	v_pk_add_f32 v[2:3], v[2:3], v[18:19] op_sel_hi:[0,1]
	v_and_b32_e32 v3, 0x7f800000, v2
	v_cmp_ne_u32_e32 vcc, s17, v3
	s_and_saveexec_b64 s[6:7], vcc
	s_xor_b64 s[6:7], exec, s[6:7]
; %bb.22:                               ;   in Loop: Header=BB34_5 Depth=1
	v_bfe_u32 v3, v2, 16, 1
	v_add3_u32 v9, v2, v3, s25
                                        ; implicit-def: $vgpr2_vgpr3
; %bb.23:                               ;   in Loop: Header=BB34_5 Depth=1
	s_andn2_saveexec_b64 s[6:7], s[6:7]
; %bb.24:                               ;   in Loop: Header=BB34_5 Depth=1
	v_or_b32_e32 v3, 0x10000, v2
	v_cmp_eq_u32_sdwa vcc, v2, v10 src0_sel:WORD_0 src1_sel:DWORD
	v_cndmask_b32_e32 v9, v3, v2, vcc
; %bb.25:                               ;   in Loop: Header=BB34_5 Depth=1
	s_or_b64 exec, exec, s[6:7]
	v_and_b32_e32 v2, 0xffff0000, v17
	v_and_b32_e32 v4, 0xffff0000, v4
	v_pk_add_f32 v[2:3], v[2:3], v[4:5] op_sel_hi:[0,1]
	v_and_b32_e32 v3, 0x7f800000, v2
	v_cmp_ne_u32_e32 vcc, s17, v3
                                        ; implicit-def: $vgpr4
	s_and_saveexec_b64 s[6:7], vcc
	s_xor_b64 s[6:7], exec, s[6:7]
; %bb.26:                               ;   in Loop: Header=BB34_5 Depth=1
	v_bfe_u32 v3, v2, 16, 1
	v_add3_u32 v4, v2, v3, s25
                                        ; implicit-def: $vgpr2_vgpr3
; %bb.27:                               ;   in Loop: Header=BB34_5 Depth=1
	s_andn2_saveexec_b64 s[6:7], s[6:7]
; %bb.28:                               ;   in Loop: Header=BB34_5 Depth=1
	v_or_b32_e32 v3, 0x10000, v2
	v_cmp_eq_u32_sdwa vcc, v2, v10 src0_sel:WORD_0 src1_sel:DWORD
	v_cndmask_b32_e32 v4, v3, v2, vcc
; %bb.29:                               ;   in Loop: Header=BB34_5 Depth=1
	s_or_b64 exec, exec, s[6:7]
	global_load_dword v18, v[6:7], off offset:12
	v_lshlrev_b32_e32 v20, 16, v5
                                        ; implicit-def: $vgpr17
	s_waitcnt vmcnt(0)
	v_lshlrev_b32_e32 v2, 16, v18
	v_pk_add_f32 v[2:3], v[2:3], v[20:21] op_sel_hi:[0,1]
	v_and_b32_e32 v3, 0x7f800000, v2
	v_cmp_ne_u32_e32 vcc, s17, v3
	s_and_saveexec_b64 s[6:7], vcc
	s_xor_b64 s[6:7], exec, s[6:7]
; %bb.30:                               ;   in Loop: Header=BB34_5 Depth=1
	v_bfe_u32 v3, v2, 16, 1
	v_add3_u32 v17, v2, v3, s25
                                        ; implicit-def: $vgpr2_vgpr3
; %bb.31:                               ;   in Loop: Header=BB34_5 Depth=1
	s_andn2_saveexec_b64 s[6:7], s[6:7]
; %bb.32:                               ;   in Loop: Header=BB34_5 Depth=1
	v_or_b32_e32 v3, 0x10000, v2
	v_cmp_eq_u32_sdwa vcc, v2, v10 src0_sel:WORD_0 src1_sel:DWORD
	v_cndmask_b32_e32 v17, v3, v2, vcc
; %bb.33:                               ;   in Loop: Header=BB34_5 Depth=1
	s_or_b64 exec, exec, s[6:7]
	v_and_b32_e32 v2, 0xffff0000, v18
	v_and_b32_e32 v18, 0xffff0000, v5
	v_pk_add_f32 v[2:3], v[2:3], v[18:19] op_sel_hi:[0,1]
	v_and_b32_e32 v3, 0x7f800000, v2
	v_cmp_ne_u32_e32 vcc, s17, v3
                                        ; implicit-def: $vgpr5
	s_and_saveexec_b64 s[6:7], vcc
	s_xor_b64 s[6:7], exec, s[6:7]
; %bb.34:                               ;   in Loop: Header=BB34_5 Depth=1
	v_bfe_u32 v3, v2, 16, 1
	v_add3_u32 v5, v2, v3, s25
                                        ; implicit-def: $vgpr2_vgpr3
; %bb.35:                               ;   in Loop: Header=BB34_5 Depth=1
	s_andn2_saveexec_b64 s[6:7], s[6:7]
	s_cbranch_execz .LBB34_4
; %bb.36:                               ;   in Loop: Header=BB34_5 Depth=1
	v_or_b32_e32 v3, 0x10000, v2
	v_cmp_eq_u32_sdwa vcc, v2, v10 src0_sel:WORD_0 src1_sel:DWORD
	v_cndmask_b32_e32 v5, v3, v2, vcc
	s_branch .LBB34_4
.LBB34_37:
	s_or_b64 exec, exec, s[18:19]
	v_mov_b32_e32 v10, s23
.LBB34_38:
	s_or_b64 exec, exec, s[2:3]
	v_mbcnt_lo_u32_b32 v2, -1, 0
	v_mbcnt_hi_u32_b32 v2, -1, v2
	v_and_b32_e32 v3, 63, v2
	v_cmp_ne_u32_e32 vcc, 63, v3
	v_addc_co_u32_e32 v4, vcc, 0, v2, vcc
	v_lshlrev_b32_e32 v4, 2, v4
	ds_bpermute_b32 v4, v4, v1
	v_and_b32_e32 v5, 0x3c0, v0
	v_sub_u32_e64 v5, v10, v5 clamp
	v_add_u32_e32 v6, 1, v2
	v_cmp_lt_u32_e32 vcc, v6, v5
	s_waitcnt lgkmcnt(0)
	v_add_f32_e32 v4, v1, v4
	v_cndmask_b32_e32 v1, v1, v4, vcc
	v_cmp_gt_u32_e32 vcc, 62, v3
	v_cndmask_b32_e64 v4, 0, 1, vcc
	v_lshlrev_b32_e32 v4, 1, v4
	v_add_lshl_u32 v4, v4, v2, 2
	ds_bpermute_b32 v4, v4, v1
	v_add_u32_e32 v6, 2, v2
	v_cmp_lt_u32_e32 vcc, v6, v5
	v_add_u32_e32 v6, 4, v2
	s_waitcnt lgkmcnt(0)
	v_add_f32_e32 v4, v1, v4
	v_cndmask_b32_e32 v1, v1, v4, vcc
	v_cmp_gt_u32_e32 vcc, 60, v3
	v_cndmask_b32_e64 v4, 0, 1, vcc
	v_lshlrev_b32_e32 v4, 2, v4
	v_add_lshl_u32 v4, v4, v2, 2
	ds_bpermute_b32 v4, v4, v1
	v_cmp_lt_u32_e32 vcc, v6, v5
	v_add_u32_e32 v6, 8, v2
	s_waitcnt lgkmcnt(0)
	v_add_f32_e32 v4, v1, v4
	v_cndmask_b32_e32 v1, v1, v4, vcc
	v_cmp_gt_u32_e32 vcc, 56, v3
	v_cndmask_b32_e64 v4, 0, 1, vcc
	v_lshlrev_b32_e32 v4, 3, v4
	v_add_lshl_u32 v4, v4, v2, 2
	ds_bpermute_b32 v4, v4, v1
	;; [unrolled: 10-line block ×3, first 2 shown]
	v_cmp_lt_u32_e32 vcc, v6, v5
	s_waitcnt lgkmcnt(0)
	v_add_f32_e32 v4, v1, v4
	v_cndmask_b32_e32 v1, v1, v4, vcc
	v_cmp_gt_u32_e32 vcc, 32, v3
	v_cndmask_b32_e64 v3, 0, 1, vcc
	v_lshlrev_b32_e32 v3, 5, v3
	v_add_lshl_u32 v3, v3, v2, 2
	ds_bpermute_b32 v3, v3, v1
	v_add_u32_e32 v4, 32, v2
	v_cmp_lt_u32_e32 vcc, v4, v5
	s_waitcnt lgkmcnt(0)
	v_add_f32_e32 v3, v1, v3
	v_cndmask_b32_e32 v1, v1, v3, vcc
	v_cmp_eq_u32_e32 vcc, 0, v2
	s_and_saveexec_b64 s[2:3], vcc
	s_cbranch_execz .LBB34_40
; %bb.39:
	v_lshrrev_b32_e32 v3, 4, v0
	v_and_b32_e32 v3, 60, v3
	ds_write_b32 v3, v1
.LBB34_40:
	s_or_b64 exec, exec, s[2:3]
	v_cmp_gt_u32_e32 vcc, 16, v0
	s_waitcnt lgkmcnt(0)
	s_barrier
	s_and_saveexec_b64 s[6:7], vcc
	s_cbranch_execz .LBB34_42
; %bb.41:
	v_lshlrev_b32_e32 v1, 2, v2
	ds_read_b32 v1, v1
	v_and_b32_e32 v3, 15, v2
	v_cmp_ne_u32_e32 vcc, 15, v3
	v_addc_co_u32_e32 v4, vcc, 0, v2, vcc
	v_lshlrev_b32_e32 v4, 2, v4
	s_waitcnt lgkmcnt(0)
	ds_bpermute_b32 v4, v4, v1
	v_add_u32_e32 v5, 63, v10
	v_lshrrev_b32_e32 v5, 6, v5
	v_add_u32_e32 v6, 1, v3
	v_cmp_gt_u32_e64 s[2:3], 14, v3
	v_cmp_lt_u32_e32 vcc, v6, v5
	v_cndmask_b32_e64 v6, 0, 1, s[2:3]
	s_waitcnt lgkmcnt(0)
	v_add_f32_e32 v4, v1, v4
	v_lshlrev_b32_e32 v6, 1, v6
	v_cndmask_b32_e32 v4, v1, v4, vcc
	v_add_lshl_u32 v6, v6, v2, 2
	ds_bpermute_b32 v6, v6, v4
	v_add_u32_e32 v7, 2, v3
	v_cmp_lt_u32_e64 s[2:3], v7, v5
	v_add_u32_e32 v7, 4, v3
	s_waitcnt lgkmcnt(0)
	v_add_f32_e32 v6, v4, v6
	v_cndmask_b32_e64 v4, v4, v6, s[2:3]
	v_cmp_gt_u32_e64 s[2:3], 12, v3
	v_cndmask_b32_e64 v6, 0, 1, s[2:3]
	v_lshlrev_b32_e32 v6, 2, v6
	v_add_lshl_u32 v6, v6, v2, 2
	ds_bpermute_b32 v6, v6, v4
	v_cmp_lt_u32_e64 s[2:3], v7, v5
	s_waitcnt lgkmcnt(0)
	v_add_f32_e32 v6, v4, v6
	v_cndmask_b32_e64 v4, v4, v6, s[2:3]
	v_cmp_gt_u32_e64 s[2:3], 8, v3
	v_cndmask_b32_e64 v6, 0, 1, s[2:3]
	v_lshlrev_b32_e32 v6, 3, v6
	v_add_lshl_u32 v2, v6, v2, 2
	ds_bpermute_b32 v2, v2, v4
	v_add_u32_e32 v3, 8, v3
	v_cmp_lt_u32_e64 s[2:3], v3, v5
	s_waitcnt lgkmcnt(0)
	v_add_f32_e32 v2, v4, v2
	v_cndmask_b32_e64 v2, v4, v2, s[2:3]
	v_cndmask_b32_e32 v1, v1, v2, vcc
.LBB34_42:
	s_or_b64 exec, exec, s[6:7]
	v_cmp_eq_u32_e32 vcc, 0, v0
	s_and_saveexec_b64 s[2:3], vcc
	s_cbranch_execz .LBB34_44
; %bb.43:
	v_cvt_f32_i32_e32 v2, s22
	s_load_dword s6, s[4:5], 0x30
	v_div_scale_f32 v3, s[4:5], v2, v2, v1
	v_rcp_f32_e32 v4, v3
	v_div_scale_f32 v5, vcc, v1, v2, v1
	s_mov_b32 s4, 0x800000
	v_fma_f32 v6, -v3, v4, 1.0
	v_fmac_f32_e32 v4, v6, v4
	v_mul_f32_e32 v6, v5, v4
	v_fma_f32 v7, -v3, v6, v5
	v_fmac_f32_e32 v6, v7, v4
	v_fma_f32 v3, -v3, v6, v5
	v_div_fmas_f32 v3, v3, v4, v6
	v_div_fixup_f32 v1, v3, v2, v1
	s_waitcnt lgkmcnt(0)
	v_add_f32_e32 v1, s6, v1
	v_mul_f32_e32 v2, 0x4b800000, v1
	v_cmp_gt_f32_e32 vcc, s4, v1
	v_cndmask_b32_e32 v1, v1, v2, vcc
	v_rsq_f32_e32 v1, v1
	v_mul_f32_e32 v2, 0x45800000, v1
	v_cndmask_b32_e32 v1, v1, v2, vcc
	v_mov_b32_e32 v2, 0
	ds_write_b32 v2, v1 offset:64
.LBB34_44:
	s_or_b64 exec, exec, s[2:3]
	s_waitcnt lgkmcnt(0)
	s_barrier
	s_and_saveexec_b64 s[2:3], s[0:1]
	s_cbranch_execz .LBB34_239
; %bb.45:
	s_load_dword s2, s[10:11], 0x0
	v_mov_b32_e32 v13, 0
	ds_read_b32 v22, v13 offset:64
	v_mov_b32_e32 v11, v13
	v_add_lshl_u32 v1, v0, s21, 3
	s_waitcnt lgkmcnt(0)
	v_div_scale_f32 v2, s[0:1], s2, s2, 1.0
	v_rcp_f32_e32 v3, v2
	v_div_scale_f32 v4, vcc, 1.0, s2, 1.0
	v_lshlrev_b32_e32 v24, 3, v10
	v_fma_f32 v5, -v2, v3, 1.0
	v_fmac_f32_e32 v3, v5, v3
	v_mul_f32_e32 v5, v4, v3
	v_fma_f32 v6, -v2, v5, v4
	v_fmac_f32_e32 v5, v6, v3
	v_fma_f32 v2, -v2, v5, v4
	v_div_fmas_f32 v2, v2, v3, v5
	v_div_fixup_f32 v23, v2, s2, 1.0
	v_lshlrev_b32_e32 v2, 4, v0
	v_mov_b32_e32 v3, s9
	v_add_co_u32_e32 v2, vcc, s8, v2
	v_addc_co_u32_e32 v3, vcc, 0, v3, vcc
	v_add_co_u32_e32 v14, vcc, 14, v2
	v_addc_co_u32_e32 v15, vcc, 0, v3, vcc
	v_lshlrev_b64 v[16:17], 4, v[10:11]
	s_mov_b64 s[2:3], 0
	v_mov_b32_e32 v11, s13
	s_mov_b32 s13, 0x7f800000
	s_movk_i32 s18, 0x7fff
	s_movk_i32 s19, 0x80
	s_mov_b64 s[4:5], 0x7f800000
	s_mov_b64 s[6:7], 0x43e00001
	s_movk_i32 s22, 0x79
	s_movk_i32 s23, 0x7f
	v_mov_b32_e32 v25, 0x78
	v_mov_b32_e32 v26, 0xffffff89
	s_branch .LBB34_47
.LBB34_46:                              ;   in Loop: Header=BB34_47 Depth=1
	s_or_b64 exec, exec, s[0:1]
	v_add_u32_e32 v0, v0, v10
	v_cmp_le_i32_e32 vcc, s20, v0
	s_or_b64 s[2:3], vcc, s[2:3]
	v_add_co_u32_e32 v14, vcc, v14, v16
	v_add_u32_e32 v1, v1, v24
	v_addc_co_u32_e32 v15, vcc, v15, v17, vcc
	global_store_byte v[18:19], v3, off offset:7
	s_andn2_b64 exec, exec, s[2:3]
	s_cbranch_execz .LBB34_239
.LBB34_47:                              ; =>This Inner Loop Header: Depth=1
	v_add_u32_e32 v2, s21, v0
	v_ashrrev_i32_e32 v3, 31, v2
	v_lshlrev_b64 v[2:3], 4, v[2:3]
	v_add_co_u32_e32 v18, vcc, s12, v2
	v_addc_co_u32_e32 v19, vcc, v11, v3, vcc
	global_load_dwordx4 v[6:9], v[18:19], off
	global_load_dwordx4 v[2:5], v[14:15], off offset:-14
	s_waitcnt vmcnt(1)
	v_lshlrev_b32_e32 v12, 16, v6
	v_mul_f32_e32 v12, v22, v12
	v_and_b32_e32 v18, 0x7f800000, v12
	v_cmp_ne_u32_e32 vcc, s13, v18
                                        ; implicit-def: $vgpr18
	s_and_saveexec_b64 s[0:1], vcc
	s_xor_b64 s[0:1], exec, s[0:1]
; %bb.48:                               ;   in Loop: Header=BB34_47 Depth=1
	v_bfe_u32 v18, v12, 16, 1
	v_add3_u32 v18, v12, v18, s18
                                        ; implicit-def: $vgpr12
; %bb.49:                               ;   in Loop: Header=BB34_47 Depth=1
	s_andn2_saveexec_b64 s[0:1], s[0:1]
; %bb.50:                               ;   in Loop: Header=BB34_47 Depth=1
	v_or_b32_e32 v18, 0x10000, v12
	v_cmp_eq_u32_sdwa vcc, v12, v13 src0_sel:WORD_0 src1_sel:DWORD
	v_cndmask_b32_e32 v18, v18, v12, vcc
; %bb.51:                               ;   in Loop: Header=BB34_47 Depth=1
	s_or_b64 exec, exec, s[0:1]
	v_and_b32_e32 v12, 0xffff0000, v18
	s_waitcnt vmcnt(0)
	v_lshlrev_b32_e32 v18, 16, v2
	v_mul_f32_e32 v12, v12, v18
	v_and_b32_e32 v18, 0x7f800000, v12
	v_cmp_ne_u32_e32 vcc, s13, v18
                                        ; implicit-def: $vgpr18
	s_and_saveexec_b64 s[0:1], vcc
	s_xor_b64 s[0:1], exec, s[0:1]
; %bb.52:                               ;   in Loop: Header=BB34_47 Depth=1
	v_bfe_u32 v18, v12, 16, 1
	v_add3_u32 v18, v12, v18, s18
                                        ; implicit-def: $vgpr12
; %bb.53:                               ;   in Loop: Header=BB34_47 Depth=1
	s_andn2_saveexec_b64 s[0:1], s[0:1]
; %bb.54:                               ;   in Loop: Header=BB34_47 Depth=1
	v_or_b32_e32 v18, 0x10000, v12
	v_cmp_eq_u32_sdwa vcc, v12, v13 src0_sel:WORD_0 src1_sel:DWORD
	v_cndmask_b32_e32 v18, v18, v12, vcc
; %bb.55:                               ;   in Loop: Header=BB34_47 Depth=1
	s_or_b64 exec, exec, s[0:1]
	v_and_b32_e32 v12, 0xffff0000, v18
	v_mul_f32_e32 v12, v23, v12
	v_min_f32_e32 v12, 0x43e00000, v12
	v_max_f32_e32 v18, 0xc3e00000, v12
	v_and_b32_sdwa v20, v18, s19 dst_sel:DWORD dst_unused:UNUSED_PAD src0_sel:BYTE_3 src1_sel:DWORD
	v_and_b32_e32 v28, 0x7f800000, v18
	v_mov_b32_e32 v29, v13
	v_and_b32_e32 v12, 0x7fffff, v18
	v_or_b32_e32 v21, 0x7e, v20
	v_cmp_ne_u64_e32 vcc, s[4:5], v[28:29]
	s_and_saveexec_b64 s[0:1], vcc
	s_xor_b64 s[8:9], exec, s[0:1]
	s_cbranch_execz .LBB34_69
; %bb.56:                               ;   in Loop: Header=BB34_47 Depth=1
	v_and_b32_e32 v28, 0x7fffffff, v18
	v_mov_b32_e32 v29, v13
	v_cmp_gt_u64_e32 vcc, s[6:7], v[28:29]
	s_and_saveexec_b64 s[0:1], vcc
	s_xor_b64 s[10:11], exec, s[0:1]
	s_cbranch_execz .LBB34_68
; %bb.57:                               ;   in Loop: Header=BB34_47 Depth=1
	v_cmp_ne_u32_e32 vcc, 0, v18
	v_mov_b32_e32 v21, 0
	s_and_saveexec_b64 s[16:17], vcc
	s_cbranch_execz .LBB34_67
; %bb.58:                               ;   in Loop: Header=BB34_47 Depth=1
	v_bfe_u32 v18, v18, 23, 8
	v_sub_u32_e64 v19, s22, v18 clamp
	v_cmp_eq_u32_e32 vcc, 0, v18
	v_cndmask_b32_e32 v30, v19, v25, vcc
	v_add_u32_e32 v27, 0xffffff88, v18
	v_add_u32_e32 v18, 20, v30
	v_or_b32_e32 v21, 0x800000, v12
	v_lshlrev_b64 v[18:19], v18, -1
	v_cndmask_b32_e32 v12, v21, v12, vcc
	v_not_b32_e32 v19, v19
	v_not_b32_e32 v18, v18
	v_add_u32_e32 v21, 19, v30
	v_and_b32_e32 v19, 0, v19
	v_and_b32_e32 v18, v12, v18
	v_lshlrev_b64 v[28:29], v21, 1
	v_cmp_eq_u64_e64 s[0:1], v[18:19], v[28:29]
	v_lshrrev_b64 v[18:19], v30, v[12:13]
	v_cndmask_b32_e32 v12, v27, v26, vcc
	v_lshrrev_b32_e32 v21, 23, v18
	v_add3_u32 v21, v12, v30, v21
	v_and_b32_e32 v12, 0x100000, v18
	v_cmp_eq_u64_e32 vcc, 0, v[12:13]
	s_and_b64 vcc, vcc, s[0:1]
	v_subbrev_co_u32_e32 v12, vcc, 0, v18, vcc
	v_and_b32_e32 v12, 0xfffff, v12
	v_add_co_u32_e32 v18, vcc, v12, v18
	v_add_u32_e32 v27, -1, v21
	v_addc_co_u32_e32 v19, vcc, 0, v19, vcc
	v_cmp_ne_u32_e32 vcc, 0, v27
                                        ; implicit-def: $vgpr12
	s_and_saveexec_b64 s[0:1], vcc
	s_xor_b64 s[0:1], exec, s[0:1]
; %bb.59:                               ;   in Loop: Header=BB34_47 Depth=1
	v_and_b32_e32 v12, 0x1000000, v18
	v_cmp_eq_u64_e32 vcc, 0, v[12:13]
	v_cndmask_b32_e32 v12, v21, v27, vcc
	v_bfe_u32 v21, v18, 24, 1
	v_lshrrev_b64 v[18:19], v21, v[18:19]
; %bb.60:                               ;   in Loop: Header=BB34_47 Depth=1
	s_andn2_saveexec_b64 s[0:1], s[0:1]
; %bb.61:                               ;   in Loop: Header=BB34_47 Depth=1
	v_bfe_u32 v12, v18, 23, 1
; %bb.62:                               ;   in Loop: Header=BB34_47 Depth=1
	s_or_b64 exec, exec, s[0:1]
	v_lshrrev_b64 v[18:19], 20, v[18:19]
	v_cmp_gt_i32_e32 vcc, 16, v12
	v_cndmask_b32_e32 v19, 0, v19, vcc
	v_cndmask_b32_e32 v18, 7, v18, vcc
	v_cmp_ne_u32_e32 vcc, 0, v12
	v_cmp_ne_u64_e64 s[0:1], 0, v[18:19]
	s_or_b64 s[0:1], vcc, s[0:1]
                                        ; implicit-def: $vgpr21
	s_and_saveexec_b64 s[24:25], s[0:1]
	s_xor_b64 s[0:1], exec, s[24:25]
; %bb.63:                               ;   in Loop: Header=BB34_47 Depth=1
	v_min_i32_e32 v12, 15, v12
	v_lshl_or_b32 v12, v12, 3, v20
	v_and_or_b32 v21, v18, 7, v12
                                        ; implicit-def: $vgpr20
; %bb.64:                               ;   in Loop: Header=BB34_47 Depth=1
	s_andn2_saveexec_b64 s[0:1], s[0:1]
; %bb.65:                               ;   in Loop: Header=BB34_47 Depth=1
	v_mov_b32_e32 v21, v20
; %bb.66:                               ;   in Loop: Header=BB34_47 Depth=1
	s_or_b64 exec, exec, s[0:1]
.LBB34_67:                              ;   in Loop: Header=BB34_47 Depth=1
	s_or_b64 exec, exec, s[16:17]
.LBB34_68:                              ;   in Loop: Header=BB34_47 Depth=1
	s_andn2_saveexec_b64 s[0:1], s[10:11]
	s_or_b64 exec, exec, s[0:1]
                                        ; implicit-def: $vgpr18
.LBB34_69:                              ;   in Loop: Header=BB34_47 Depth=1
	s_andn2_saveexec_b64 s[0:1], s[8:9]
; %bb.70:                               ;   in Loop: Header=BB34_47 Depth=1
	v_or_b32_sdwa v18, v18, s23 dst_sel:DWORD dst_unused:UNUSED_PAD src0_sel:BYTE_3 src1_sel:DWORD
	v_cmp_eq_u64_e32 vcc, 0, v[12:13]
	v_cndmask_b32_e32 v21, v18, v21, vcc
; %bb.71:                               ;   in Loop: Header=BB34_47 Depth=1
	s_or_b64 exec, exec, s[0:1]
	v_and_b32_e32 v6, 0xffff0000, v6
	v_ashrrev_i32_e32 v12, 31, v1
	v_mov_b32_e32 v19, s15
	v_add_co_u32_e32 v18, vcc, s14, v1
	v_mul_f32_e32 v6, v22, v6
	v_addc_co_u32_e32 v19, vcc, v19, v12, vcc
	v_and_b32_e32 v12, 0x7f800000, v6
	v_cmp_ne_u32_e32 vcc, s13, v12
	global_store_byte v[18:19], v21, off
                                        ; implicit-def: $vgpr12
	s_and_saveexec_b64 s[0:1], vcc
	s_xor_b64 s[0:1], exec, s[0:1]
; %bb.72:                               ;   in Loop: Header=BB34_47 Depth=1
	v_bfe_u32 v12, v6, 16, 1
	v_add3_u32 v12, v6, v12, s18
                                        ; implicit-def: $vgpr6
; %bb.73:                               ;   in Loop: Header=BB34_47 Depth=1
	s_andn2_saveexec_b64 s[0:1], s[0:1]
; %bb.74:                               ;   in Loop: Header=BB34_47 Depth=1
	v_or_b32_e32 v12, 0x10000, v6
	v_cmp_eq_u32_sdwa vcc, v6, v13 src0_sel:WORD_0 src1_sel:DWORD
	v_cndmask_b32_e32 v12, v12, v6, vcc
; %bb.75:                               ;   in Loop: Header=BB34_47 Depth=1
	s_or_b64 exec, exec, s[0:1]
	v_and_b32_e32 v6, 0xffff0000, v12
	v_and_b32_e32 v2, 0xffff0000, v2
	v_mul_f32_e32 v2, v6, v2
	v_and_b32_e32 v6, 0x7f800000, v2
	v_cmp_ne_u32_e32 vcc, s13, v6
                                        ; implicit-def: $vgpr6
	s_and_saveexec_b64 s[0:1], vcc
	s_xor_b64 s[0:1], exec, s[0:1]
; %bb.76:                               ;   in Loop: Header=BB34_47 Depth=1
	v_bfe_u32 v6, v2, 16, 1
	v_add3_u32 v6, v2, v6, s18
                                        ; implicit-def: $vgpr2
; %bb.77:                               ;   in Loop: Header=BB34_47 Depth=1
	s_andn2_saveexec_b64 s[0:1], s[0:1]
; %bb.78:                               ;   in Loop: Header=BB34_47 Depth=1
	v_or_b32_e32 v6, 0x10000, v2
	v_cmp_eq_u32_sdwa vcc, v2, v13 src0_sel:WORD_0 src1_sel:DWORD
	v_cndmask_b32_e32 v6, v6, v2, vcc
; %bb.79:                               ;   in Loop: Header=BB34_47 Depth=1
	s_or_b64 exec, exec, s[0:1]
	v_and_b32_e32 v2, 0xffff0000, v6
	v_mul_f32_e32 v2, v23, v2
	v_min_f32_e32 v2, 0x43e00000, v2
	v_max_f32_e32 v20, 0xc3e00000, v2
	v_and_b32_sdwa v2, v20, s19 dst_sel:DWORD dst_unused:UNUSED_PAD src0_sel:BYTE_3 src1_sel:DWORD
	v_and_b32_e32 v28, 0x7f800000, v20
	v_mov_b32_e32 v29, v13
	v_and_b32_e32 v12, 0x7fffff, v20
	v_or_b32_e32 v6, 0x7e, v2
	v_cmp_ne_u64_e32 vcc, s[4:5], v[28:29]
	s_and_saveexec_b64 s[0:1], vcc
	s_xor_b64 s[8:9], exec, s[0:1]
	s_cbranch_execz .LBB34_93
; %bb.80:                               ;   in Loop: Header=BB34_47 Depth=1
	v_and_b32_e32 v28, 0x7fffffff, v20
	v_mov_b32_e32 v29, v13
	v_cmp_gt_u64_e32 vcc, s[6:7], v[28:29]
	s_and_saveexec_b64 s[0:1], vcc
	s_xor_b64 s[10:11], exec, s[0:1]
	s_cbranch_execz .LBB34_92
; %bb.81:                               ;   in Loop: Header=BB34_47 Depth=1
	v_cmp_ne_u32_e32 vcc, 0, v20
	v_mov_b32_e32 v6, 0
	s_and_saveexec_b64 s[16:17], vcc
	s_cbranch_execz .LBB34_91
; %bb.82:                               ;   in Loop: Header=BB34_47 Depth=1
	v_bfe_u32 v6, v20, 23, 8
	v_sub_u32_e64 v20, s22, v6 clamp
	v_cmp_eq_u32_e32 vcc, 0, v6
	v_add_u32_e32 v27, 0xffffff88, v6
	v_cndmask_b32_e32 v6, v20, v25, vcc
	v_or_b32_e32 v21, 0x800000, v12
	v_add_u32_e32 v20, 20, v6
	v_cndmask_b32_e32 v12, v21, v12, vcc
	v_lshlrev_b64 v[20:21], v20, -1
	v_not_b32_e32 v21, v21
	v_not_b32_e32 v20, v20
	v_add_u32_e32 v28, 19, v6
	v_and_b32_e32 v21, 0, v21
	v_and_b32_e32 v20, v12, v20
	v_lshlrev_b64 v[28:29], v28, 1
	v_cmp_eq_u64_e64 s[0:1], v[20:21], v[28:29]
	v_lshrrev_b64 v[20:21], v6, v[12:13]
	v_cndmask_b32_e32 v12, v27, v26, vcc
	v_lshrrev_b32_e32 v27, 23, v20
	v_add3_u32 v6, v12, v6, v27
	v_and_b32_e32 v12, 0x100000, v20
	v_cmp_eq_u64_e32 vcc, 0, v[12:13]
	s_and_b64 vcc, vcc, s[0:1]
	v_subbrev_co_u32_e32 v12, vcc, 0, v20, vcc
	v_and_b32_e32 v12, 0xfffff, v12
	v_add_co_u32_e32 v20, vcc, v12, v20
	v_add_u32_e32 v27, -1, v6
	v_addc_co_u32_e32 v21, vcc, 0, v21, vcc
	v_cmp_ne_u32_e32 vcc, 0, v27
                                        ; implicit-def: $vgpr12
	s_and_saveexec_b64 s[0:1], vcc
	s_xor_b64 s[0:1], exec, s[0:1]
; %bb.83:                               ;   in Loop: Header=BB34_47 Depth=1
	v_and_b32_e32 v12, 0x1000000, v20
	v_cmp_eq_u64_e32 vcc, 0, v[12:13]
	v_cndmask_b32_e32 v12, v6, v27, vcc
	v_bfe_u32 v6, v20, 24, 1
	v_lshrrev_b64 v[20:21], v6, v[20:21]
; %bb.84:                               ;   in Loop: Header=BB34_47 Depth=1
	s_andn2_saveexec_b64 s[0:1], s[0:1]
; %bb.85:                               ;   in Loop: Header=BB34_47 Depth=1
	v_bfe_u32 v12, v20, 23, 1
; %bb.86:                               ;   in Loop: Header=BB34_47 Depth=1
	s_or_b64 exec, exec, s[0:1]
	v_lshrrev_b64 v[20:21], 20, v[20:21]
	v_cmp_gt_i32_e32 vcc, 16, v12
	v_cndmask_b32_e32 v21, 0, v21, vcc
	v_cndmask_b32_e32 v20, 7, v20, vcc
	v_cmp_ne_u32_e32 vcc, 0, v12
	v_cmp_ne_u64_e64 s[0:1], 0, v[20:21]
	s_or_b64 s[0:1], vcc, s[0:1]
                                        ; implicit-def: $vgpr6
	s_and_saveexec_b64 s[24:25], s[0:1]
	s_xor_b64 s[0:1], exec, s[24:25]
; %bb.87:                               ;   in Loop: Header=BB34_47 Depth=1
	v_min_i32_e32 v6, 15, v12
	v_lshl_or_b32 v2, v6, 3, v2
	v_and_or_b32 v6, v20, 7, v2
                                        ; implicit-def: $vgpr2
; %bb.88:                               ;   in Loop: Header=BB34_47 Depth=1
	s_andn2_saveexec_b64 s[0:1], s[0:1]
; %bb.89:                               ;   in Loop: Header=BB34_47 Depth=1
	v_mov_b32_e32 v6, v2
; %bb.90:                               ;   in Loop: Header=BB34_47 Depth=1
	s_or_b64 exec, exec, s[0:1]
.LBB34_91:                              ;   in Loop: Header=BB34_47 Depth=1
	s_or_b64 exec, exec, s[16:17]
.LBB34_92:                              ;   in Loop: Header=BB34_47 Depth=1
	s_andn2_saveexec_b64 s[0:1], s[10:11]
	s_or_b64 exec, exec, s[0:1]
                                        ; implicit-def: $vgpr20
.LBB34_93:                              ;   in Loop: Header=BB34_47 Depth=1
	s_andn2_saveexec_b64 s[0:1], s[8:9]
; %bb.94:                               ;   in Loop: Header=BB34_47 Depth=1
	v_or_b32_sdwa v2, v20, s23 dst_sel:DWORD dst_unused:UNUSED_PAD src0_sel:BYTE_3 src1_sel:DWORD
	v_cmp_eq_u64_e32 vcc, 0, v[12:13]
	v_cndmask_b32_e32 v6, v2, v6, vcc
; %bb.95:                               ;   in Loop: Header=BB34_47 Depth=1
	s_or_b64 exec, exec, s[0:1]
	v_lshlrev_b32_e32 v2, 16, v7
	v_mul_f32_e32 v2, v22, v2
	global_store_byte v[18:19], v6, off offset:1
	v_and_b32_e32 v6, 0x7f800000, v2
	v_cmp_ne_u32_e32 vcc, s13, v6
                                        ; implicit-def: $vgpr6
	s_and_saveexec_b64 s[0:1], vcc
	s_xor_b64 s[0:1], exec, s[0:1]
; %bb.96:                               ;   in Loop: Header=BB34_47 Depth=1
	v_bfe_u32 v6, v2, 16, 1
	v_add3_u32 v6, v2, v6, s18
                                        ; implicit-def: $vgpr2
; %bb.97:                               ;   in Loop: Header=BB34_47 Depth=1
	s_andn2_saveexec_b64 s[0:1], s[0:1]
; %bb.98:                               ;   in Loop: Header=BB34_47 Depth=1
	v_or_b32_e32 v6, 0x10000, v2
	v_cmp_eq_u32_sdwa vcc, v2, v13 src0_sel:WORD_0 src1_sel:DWORD
	v_cndmask_b32_e32 v6, v6, v2, vcc
; %bb.99:                               ;   in Loop: Header=BB34_47 Depth=1
	s_or_b64 exec, exec, s[0:1]
	v_and_b32_e32 v2, 0xffff0000, v6
	v_lshlrev_b32_e32 v6, 16, v3
	v_mul_f32_e32 v2, v2, v6
	v_and_b32_e32 v6, 0x7f800000, v2
	v_cmp_ne_u32_e32 vcc, s13, v6
                                        ; implicit-def: $vgpr6
	s_and_saveexec_b64 s[0:1], vcc
	s_xor_b64 s[0:1], exec, s[0:1]
; %bb.100:                              ;   in Loop: Header=BB34_47 Depth=1
	v_bfe_u32 v6, v2, 16, 1
	v_add3_u32 v6, v2, v6, s18
                                        ; implicit-def: $vgpr2
; %bb.101:                              ;   in Loop: Header=BB34_47 Depth=1
	s_andn2_saveexec_b64 s[0:1], s[0:1]
; %bb.102:                              ;   in Loop: Header=BB34_47 Depth=1
	v_or_b32_e32 v6, 0x10000, v2
	v_cmp_eq_u32_sdwa vcc, v2, v13 src0_sel:WORD_0 src1_sel:DWORD
	v_cndmask_b32_e32 v6, v6, v2, vcc
; %bb.103:                              ;   in Loop: Header=BB34_47 Depth=1
	s_or_b64 exec, exec, s[0:1]
	v_and_b32_e32 v2, 0xffff0000, v6
	v_mul_f32_e32 v2, v23, v2
	v_min_f32_e32 v2, 0x43e00000, v2
	v_max_f32_e32 v20, 0xc3e00000, v2
	v_and_b32_sdwa v2, v20, s19 dst_sel:DWORD dst_unused:UNUSED_PAD src0_sel:BYTE_3 src1_sel:DWORD
	v_and_b32_e32 v28, 0x7f800000, v20
	v_mov_b32_e32 v29, v13
	v_and_b32_e32 v12, 0x7fffff, v20
	v_or_b32_e32 v6, 0x7e, v2
	v_cmp_ne_u64_e32 vcc, s[4:5], v[28:29]
	s_and_saveexec_b64 s[0:1], vcc
	s_xor_b64 s[8:9], exec, s[0:1]
	s_cbranch_execz .LBB34_117
; %bb.104:                              ;   in Loop: Header=BB34_47 Depth=1
	v_and_b32_e32 v28, 0x7fffffff, v20
	v_mov_b32_e32 v29, v13
	v_cmp_gt_u64_e32 vcc, s[6:7], v[28:29]
	s_and_saveexec_b64 s[0:1], vcc
	s_xor_b64 s[10:11], exec, s[0:1]
	s_cbranch_execz .LBB34_116
; %bb.105:                              ;   in Loop: Header=BB34_47 Depth=1
	v_cmp_ne_u32_e32 vcc, 0, v20
	v_mov_b32_e32 v6, 0
	s_and_saveexec_b64 s[16:17], vcc
	s_cbranch_execz .LBB34_115
; %bb.106:                              ;   in Loop: Header=BB34_47 Depth=1
	v_bfe_u32 v6, v20, 23, 8
	v_sub_u32_e64 v20, s22, v6 clamp
	v_cmp_eq_u32_e32 vcc, 0, v6
	v_add_u32_e32 v27, 0xffffff88, v6
	v_cndmask_b32_e32 v6, v20, v25, vcc
	v_or_b32_e32 v21, 0x800000, v12
	v_add_u32_e32 v20, 20, v6
	v_cndmask_b32_e32 v12, v21, v12, vcc
	v_lshlrev_b64 v[20:21], v20, -1
	v_not_b32_e32 v21, v21
	v_not_b32_e32 v20, v20
	v_add_u32_e32 v28, 19, v6
	v_and_b32_e32 v21, 0, v21
	v_and_b32_e32 v20, v12, v20
	v_lshlrev_b64 v[28:29], v28, 1
	v_cmp_eq_u64_e64 s[0:1], v[20:21], v[28:29]
	v_lshrrev_b64 v[20:21], v6, v[12:13]
	v_cndmask_b32_e32 v12, v27, v26, vcc
	v_lshrrev_b32_e32 v27, 23, v20
	v_add3_u32 v6, v12, v6, v27
	v_and_b32_e32 v12, 0x100000, v20
	v_cmp_eq_u64_e32 vcc, 0, v[12:13]
	s_and_b64 vcc, vcc, s[0:1]
	v_subbrev_co_u32_e32 v12, vcc, 0, v20, vcc
	v_and_b32_e32 v12, 0xfffff, v12
	v_add_co_u32_e32 v20, vcc, v12, v20
	v_add_u32_e32 v27, -1, v6
	v_addc_co_u32_e32 v21, vcc, 0, v21, vcc
	v_cmp_ne_u32_e32 vcc, 0, v27
                                        ; implicit-def: $vgpr12
	s_and_saveexec_b64 s[0:1], vcc
	s_xor_b64 s[0:1], exec, s[0:1]
; %bb.107:                              ;   in Loop: Header=BB34_47 Depth=1
	v_and_b32_e32 v12, 0x1000000, v20
	v_cmp_eq_u64_e32 vcc, 0, v[12:13]
	v_cndmask_b32_e32 v12, v6, v27, vcc
	v_bfe_u32 v6, v20, 24, 1
	v_lshrrev_b64 v[20:21], v6, v[20:21]
; %bb.108:                              ;   in Loop: Header=BB34_47 Depth=1
	s_andn2_saveexec_b64 s[0:1], s[0:1]
; %bb.109:                              ;   in Loop: Header=BB34_47 Depth=1
	v_bfe_u32 v12, v20, 23, 1
; %bb.110:                              ;   in Loop: Header=BB34_47 Depth=1
	s_or_b64 exec, exec, s[0:1]
	v_lshrrev_b64 v[20:21], 20, v[20:21]
	v_cmp_gt_i32_e32 vcc, 16, v12
	v_cndmask_b32_e32 v21, 0, v21, vcc
	v_cndmask_b32_e32 v20, 7, v20, vcc
	v_cmp_ne_u32_e32 vcc, 0, v12
	v_cmp_ne_u64_e64 s[0:1], 0, v[20:21]
	s_or_b64 s[0:1], vcc, s[0:1]
                                        ; implicit-def: $vgpr6
	s_and_saveexec_b64 s[24:25], s[0:1]
	s_xor_b64 s[0:1], exec, s[24:25]
; %bb.111:                              ;   in Loop: Header=BB34_47 Depth=1
	v_min_i32_e32 v6, 15, v12
	v_lshl_or_b32 v2, v6, 3, v2
	v_and_or_b32 v6, v20, 7, v2
                                        ; implicit-def: $vgpr2
; %bb.112:                              ;   in Loop: Header=BB34_47 Depth=1
	s_andn2_saveexec_b64 s[0:1], s[0:1]
; %bb.113:                              ;   in Loop: Header=BB34_47 Depth=1
	v_mov_b32_e32 v6, v2
; %bb.114:                              ;   in Loop: Header=BB34_47 Depth=1
	s_or_b64 exec, exec, s[0:1]
.LBB34_115:                             ;   in Loop: Header=BB34_47 Depth=1
	s_or_b64 exec, exec, s[16:17]
.LBB34_116:                             ;   in Loop: Header=BB34_47 Depth=1
	s_andn2_saveexec_b64 s[0:1], s[10:11]
	s_or_b64 exec, exec, s[0:1]
                                        ; implicit-def: $vgpr20
.LBB34_117:                             ;   in Loop: Header=BB34_47 Depth=1
	s_andn2_saveexec_b64 s[0:1], s[8:9]
; %bb.118:                              ;   in Loop: Header=BB34_47 Depth=1
	v_or_b32_sdwa v2, v20, s23 dst_sel:DWORD dst_unused:UNUSED_PAD src0_sel:BYTE_3 src1_sel:DWORD
	v_cmp_eq_u64_e32 vcc, 0, v[12:13]
	v_cndmask_b32_e32 v6, v2, v6, vcc
; %bb.119:                              ;   in Loop: Header=BB34_47 Depth=1
	s_or_b64 exec, exec, s[0:1]
	v_and_b32_e32 v2, 0xffff0000, v7
	v_mul_f32_e32 v2, v22, v2
	global_store_byte v[18:19], v6, off offset:2
	v_and_b32_e32 v6, 0x7f800000, v2
	v_cmp_ne_u32_e32 vcc, s13, v6
                                        ; implicit-def: $vgpr6
	s_and_saveexec_b64 s[0:1], vcc
	s_xor_b64 s[0:1], exec, s[0:1]
; %bb.120:                              ;   in Loop: Header=BB34_47 Depth=1
	v_bfe_u32 v6, v2, 16, 1
	v_add3_u32 v6, v2, v6, s18
                                        ; implicit-def: $vgpr2
; %bb.121:                              ;   in Loop: Header=BB34_47 Depth=1
	s_andn2_saveexec_b64 s[0:1], s[0:1]
; %bb.122:                              ;   in Loop: Header=BB34_47 Depth=1
	v_or_b32_e32 v6, 0x10000, v2
	v_cmp_eq_u32_sdwa vcc, v2, v13 src0_sel:WORD_0 src1_sel:DWORD
	v_cndmask_b32_e32 v6, v6, v2, vcc
; %bb.123:                              ;   in Loop: Header=BB34_47 Depth=1
	s_or_b64 exec, exec, s[0:1]
	v_and_b32_e32 v2, 0xffff0000, v6
	v_and_b32_e32 v3, 0xffff0000, v3
	v_mul_f32_e32 v2, v2, v3
	v_and_b32_e32 v3, 0x7f800000, v2
	v_cmp_ne_u32_e32 vcc, s13, v3
                                        ; implicit-def: $vgpr3
	s_and_saveexec_b64 s[0:1], vcc
	s_xor_b64 s[0:1], exec, s[0:1]
; %bb.124:                              ;   in Loop: Header=BB34_47 Depth=1
	v_bfe_u32 v3, v2, 16, 1
	v_add3_u32 v3, v2, v3, s18
                                        ; implicit-def: $vgpr2
; %bb.125:                              ;   in Loop: Header=BB34_47 Depth=1
	s_andn2_saveexec_b64 s[0:1], s[0:1]
; %bb.126:                              ;   in Loop: Header=BB34_47 Depth=1
	v_or_b32_e32 v3, 0x10000, v2
	v_cmp_eq_u32_sdwa vcc, v2, v13 src0_sel:WORD_0 src1_sel:DWORD
	v_cndmask_b32_e32 v3, v3, v2, vcc
; %bb.127:                              ;   in Loop: Header=BB34_47 Depth=1
	s_or_b64 exec, exec, s[0:1]
	v_and_b32_e32 v2, 0xffff0000, v3
	v_mul_f32_e32 v2, v23, v2
	v_min_f32_e32 v2, 0x43e00000, v2
	v_max_f32_e32 v2, 0xc3e00000, v2
	v_and_b32_sdwa v6, v2, s19 dst_sel:DWORD dst_unused:UNUSED_PAD src0_sel:BYTE_3 src1_sel:DWORD
	v_and_b32_e32 v20, 0x7f800000, v2
	v_mov_b32_e32 v21, v13
	v_and_b32_e32 v12, 0x7fffff, v2
	v_or_b32_e32 v3, 0x7e, v6
	v_cmp_ne_u64_e32 vcc, s[4:5], v[20:21]
	s_and_saveexec_b64 s[0:1], vcc
	s_xor_b64 s[8:9], exec, s[0:1]
	s_cbranch_execz .LBB34_141
; %bb.128:                              ;   in Loop: Header=BB34_47 Depth=1
	v_and_b32_e32 v20, 0x7fffffff, v2
	v_mov_b32_e32 v21, v13
	v_cmp_gt_u64_e32 vcc, s[6:7], v[20:21]
	s_and_saveexec_b64 s[0:1], vcc
	s_xor_b64 s[10:11], exec, s[0:1]
	s_cbranch_execz .LBB34_140
; %bb.129:                              ;   in Loop: Header=BB34_47 Depth=1
	v_cmp_ne_u32_e32 vcc, 0, v2
	v_mov_b32_e32 v3, 0
	s_and_saveexec_b64 s[16:17], vcc
	s_cbranch_execz .LBB34_139
; %bb.130:                              ;   in Loop: Header=BB34_47 Depth=1
	v_bfe_u32 v2, v2, 23, 8
	v_sub_u32_e64 v3, s22, v2 clamp
	v_cmp_eq_u32_e32 vcc, 0, v2
	v_cndmask_b32_e32 v28, v3, v25, vcc
	v_add_u32_e32 v27, 0xffffff88, v2
	v_add_u32_e32 v2, 20, v28
	v_or_b32_e32 v7, 0x800000, v12
	v_lshlrev_b64 v[2:3], v2, -1
	v_cndmask_b32_e32 v12, v7, v12, vcc
	v_not_b32_e32 v3, v3
	v_not_b32_e32 v2, v2
	v_add_u32_e32 v7, 19, v28
	v_and_b32_e32 v3, 0, v3
	v_and_b32_e32 v2, v12, v2
	v_lshlrev_b64 v[20:21], v7, 1
	v_cmp_eq_u64_e64 s[0:1], v[2:3], v[20:21]
	v_lshrrev_b64 v[2:3], v28, v[12:13]
	v_cndmask_b32_e32 v7, v27, v26, vcc
	v_lshrrev_b32_e32 v12, 23, v2
	v_add3_u32 v20, v7, v28, v12
	v_and_b32_e32 v12, 0x100000, v2
	v_cmp_eq_u64_e32 vcc, 0, v[12:13]
	s_and_b64 vcc, vcc, s[0:1]
	v_subbrev_co_u32_e32 v7, vcc, 0, v2, vcc
	v_and_b32_e32 v7, 0xfffff, v7
	v_add_co_u32_e32 v2, vcc, v7, v2
	v_add_u32_e32 v21, -1, v20
	v_addc_co_u32_e32 v3, vcc, 0, v3, vcc
	v_cmp_ne_u32_e32 vcc, 0, v21
                                        ; implicit-def: $vgpr7
	s_and_saveexec_b64 s[0:1], vcc
	s_xor_b64 s[0:1], exec, s[0:1]
; %bb.131:                              ;   in Loop: Header=BB34_47 Depth=1
	v_and_b32_e32 v12, 0x1000000, v2
	v_cmp_eq_u64_e32 vcc, 0, v[12:13]
	v_bfe_u32 v12, v2, 24, 1
	v_cndmask_b32_e32 v7, v20, v21, vcc
	v_lshrrev_b64 v[2:3], v12, v[2:3]
; %bb.132:                              ;   in Loop: Header=BB34_47 Depth=1
	s_andn2_saveexec_b64 s[0:1], s[0:1]
; %bb.133:                              ;   in Loop: Header=BB34_47 Depth=1
	v_bfe_u32 v7, v2, 23, 1
; %bb.134:                              ;   in Loop: Header=BB34_47 Depth=1
	s_or_b64 exec, exec, s[0:1]
	v_lshrrev_b64 v[2:3], 20, v[2:3]
	v_cmp_gt_i32_e32 vcc, 16, v7
	v_cndmask_b32_e32 v3, 0, v3, vcc
	v_cndmask_b32_e32 v2, 7, v2, vcc
	v_cmp_ne_u32_e32 vcc, 0, v7
	v_cmp_ne_u64_e64 s[0:1], 0, v[2:3]
	s_or_b64 s[0:1], vcc, s[0:1]
                                        ; implicit-def: $vgpr3
	s_and_saveexec_b64 s[24:25], s[0:1]
	s_xor_b64 s[0:1], exec, s[24:25]
; %bb.135:                              ;   in Loop: Header=BB34_47 Depth=1
	v_min_i32_e32 v3, 15, v7
	v_lshl_or_b32 v3, v3, 3, v6
	v_and_or_b32 v3, v2, 7, v3
                                        ; implicit-def: $vgpr6
; %bb.136:                              ;   in Loop: Header=BB34_47 Depth=1
	s_andn2_saveexec_b64 s[0:1], s[0:1]
; %bb.137:                              ;   in Loop: Header=BB34_47 Depth=1
	v_mov_b32_e32 v3, v6
; %bb.138:                              ;   in Loop: Header=BB34_47 Depth=1
	s_or_b64 exec, exec, s[0:1]
.LBB34_139:                             ;   in Loop: Header=BB34_47 Depth=1
	s_or_b64 exec, exec, s[16:17]
.LBB34_140:                             ;   in Loop: Header=BB34_47 Depth=1
	s_andn2_saveexec_b64 s[0:1], s[10:11]
	s_or_b64 exec, exec, s[0:1]
                                        ; implicit-def: $vgpr2
.LBB34_141:                             ;   in Loop: Header=BB34_47 Depth=1
	s_andn2_saveexec_b64 s[0:1], s[8:9]
; %bb.142:                              ;   in Loop: Header=BB34_47 Depth=1
	v_or_b32_sdwa v2, v2, s23 dst_sel:DWORD dst_unused:UNUSED_PAD src0_sel:BYTE_3 src1_sel:DWORD
	v_cmp_eq_u64_e32 vcc, 0, v[12:13]
	v_cndmask_b32_e32 v3, v2, v3, vcc
; %bb.143:                              ;   in Loop: Header=BB34_47 Depth=1
	s_or_b64 exec, exec, s[0:1]
	v_lshlrev_b32_e32 v2, 16, v8
	v_mul_f32_e32 v2, v22, v2
	global_store_byte v[18:19], v3, off offset:3
	v_and_b32_e32 v3, 0x7f800000, v2
	v_cmp_ne_u32_e32 vcc, s13, v3
                                        ; implicit-def: $vgpr3
	s_and_saveexec_b64 s[0:1], vcc
	s_xor_b64 s[0:1], exec, s[0:1]
; %bb.144:                              ;   in Loop: Header=BB34_47 Depth=1
	v_bfe_u32 v3, v2, 16, 1
	v_add3_u32 v3, v2, v3, s18
                                        ; implicit-def: $vgpr2
; %bb.145:                              ;   in Loop: Header=BB34_47 Depth=1
	s_andn2_saveexec_b64 s[0:1], s[0:1]
; %bb.146:                              ;   in Loop: Header=BB34_47 Depth=1
	v_or_b32_e32 v3, 0x10000, v2
	v_cmp_eq_u32_sdwa vcc, v2, v13 src0_sel:WORD_0 src1_sel:DWORD
	v_cndmask_b32_e32 v3, v3, v2, vcc
; %bb.147:                              ;   in Loop: Header=BB34_47 Depth=1
	s_or_b64 exec, exec, s[0:1]
	v_and_b32_e32 v2, 0xffff0000, v3
	v_lshlrev_b32_e32 v3, 16, v4
	v_mul_f32_e32 v2, v2, v3
	v_and_b32_e32 v3, 0x7f800000, v2
	v_cmp_ne_u32_e32 vcc, s13, v3
                                        ; implicit-def: $vgpr3
	s_and_saveexec_b64 s[0:1], vcc
	s_xor_b64 s[0:1], exec, s[0:1]
; %bb.148:                              ;   in Loop: Header=BB34_47 Depth=1
	v_bfe_u32 v3, v2, 16, 1
	v_add3_u32 v3, v2, v3, s18
                                        ; implicit-def: $vgpr2
; %bb.149:                              ;   in Loop: Header=BB34_47 Depth=1
	s_andn2_saveexec_b64 s[0:1], s[0:1]
; %bb.150:                              ;   in Loop: Header=BB34_47 Depth=1
	v_or_b32_e32 v3, 0x10000, v2
	v_cmp_eq_u32_sdwa vcc, v2, v13 src0_sel:WORD_0 src1_sel:DWORD
	v_cndmask_b32_e32 v3, v3, v2, vcc
; %bb.151:                              ;   in Loop: Header=BB34_47 Depth=1
	s_or_b64 exec, exec, s[0:1]
	v_and_b32_e32 v2, 0xffff0000, v3
	v_mul_f32_e32 v2, v23, v2
	v_min_f32_e32 v2, 0x43e00000, v2
	v_max_f32_e32 v2, 0xc3e00000, v2
	v_and_b32_sdwa v6, v2, s19 dst_sel:DWORD dst_unused:UNUSED_PAD src0_sel:BYTE_3 src1_sel:DWORD
	v_and_b32_e32 v20, 0x7f800000, v2
	v_mov_b32_e32 v21, v13
	v_and_b32_e32 v12, 0x7fffff, v2
	v_or_b32_e32 v3, 0x7e, v6
	v_cmp_ne_u64_e32 vcc, s[4:5], v[20:21]
	s_and_saveexec_b64 s[0:1], vcc
	s_xor_b64 s[8:9], exec, s[0:1]
	s_cbranch_execz .LBB34_165
; %bb.152:                              ;   in Loop: Header=BB34_47 Depth=1
	v_and_b32_e32 v20, 0x7fffffff, v2
	v_mov_b32_e32 v21, v13
	v_cmp_gt_u64_e32 vcc, s[6:7], v[20:21]
	s_and_saveexec_b64 s[0:1], vcc
	s_xor_b64 s[10:11], exec, s[0:1]
	s_cbranch_execz .LBB34_164
; %bb.153:                              ;   in Loop: Header=BB34_47 Depth=1
	v_cmp_ne_u32_e32 vcc, 0, v2
	v_mov_b32_e32 v3, 0
	s_and_saveexec_b64 s[16:17], vcc
	s_cbranch_execz .LBB34_163
; %bb.154:                              ;   in Loop: Header=BB34_47 Depth=1
	v_bfe_u32 v2, v2, 23, 8
	v_sub_u32_e64 v3, s22, v2 clamp
	v_cmp_eq_u32_e32 vcc, 0, v2
	v_cndmask_b32_e32 v28, v3, v25, vcc
	v_add_u32_e32 v27, 0xffffff88, v2
	v_add_u32_e32 v2, 20, v28
	v_or_b32_e32 v7, 0x800000, v12
	v_lshlrev_b64 v[2:3], v2, -1
	v_cndmask_b32_e32 v12, v7, v12, vcc
	v_not_b32_e32 v3, v3
	v_not_b32_e32 v2, v2
	v_add_u32_e32 v7, 19, v28
	v_and_b32_e32 v3, 0, v3
	v_and_b32_e32 v2, v12, v2
	v_lshlrev_b64 v[20:21], v7, 1
	v_cmp_eq_u64_e64 s[0:1], v[2:3], v[20:21]
	v_lshrrev_b64 v[2:3], v28, v[12:13]
	v_cndmask_b32_e32 v7, v27, v26, vcc
	v_lshrrev_b32_e32 v12, 23, v2
	v_add3_u32 v20, v7, v28, v12
	v_and_b32_e32 v12, 0x100000, v2
	v_cmp_eq_u64_e32 vcc, 0, v[12:13]
	s_and_b64 vcc, vcc, s[0:1]
	v_subbrev_co_u32_e32 v7, vcc, 0, v2, vcc
	v_and_b32_e32 v7, 0xfffff, v7
	v_add_co_u32_e32 v2, vcc, v7, v2
	v_add_u32_e32 v21, -1, v20
	v_addc_co_u32_e32 v3, vcc, 0, v3, vcc
	v_cmp_ne_u32_e32 vcc, 0, v21
                                        ; implicit-def: $vgpr7
	s_and_saveexec_b64 s[0:1], vcc
	s_xor_b64 s[0:1], exec, s[0:1]
; %bb.155:                              ;   in Loop: Header=BB34_47 Depth=1
	v_and_b32_e32 v12, 0x1000000, v2
	v_cmp_eq_u64_e32 vcc, 0, v[12:13]
	v_bfe_u32 v12, v2, 24, 1
	v_cndmask_b32_e32 v7, v20, v21, vcc
	v_lshrrev_b64 v[2:3], v12, v[2:3]
; %bb.156:                              ;   in Loop: Header=BB34_47 Depth=1
	s_andn2_saveexec_b64 s[0:1], s[0:1]
; %bb.157:                              ;   in Loop: Header=BB34_47 Depth=1
	v_bfe_u32 v7, v2, 23, 1
; %bb.158:                              ;   in Loop: Header=BB34_47 Depth=1
	s_or_b64 exec, exec, s[0:1]
	v_lshrrev_b64 v[2:3], 20, v[2:3]
	v_cmp_gt_i32_e32 vcc, 16, v7
	v_cndmask_b32_e32 v3, 0, v3, vcc
	v_cndmask_b32_e32 v2, 7, v2, vcc
	v_cmp_ne_u32_e32 vcc, 0, v7
	v_cmp_ne_u64_e64 s[0:1], 0, v[2:3]
	s_or_b64 s[0:1], vcc, s[0:1]
                                        ; implicit-def: $vgpr3
	s_and_saveexec_b64 s[24:25], s[0:1]
	s_xor_b64 s[0:1], exec, s[24:25]
; %bb.159:                              ;   in Loop: Header=BB34_47 Depth=1
	v_min_i32_e32 v3, 15, v7
	v_lshl_or_b32 v3, v3, 3, v6
	v_and_or_b32 v3, v2, 7, v3
                                        ; implicit-def: $vgpr6
; %bb.160:                              ;   in Loop: Header=BB34_47 Depth=1
	s_andn2_saveexec_b64 s[0:1], s[0:1]
; %bb.161:                              ;   in Loop: Header=BB34_47 Depth=1
	v_mov_b32_e32 v3, v6
; %bb.162:                              ;   in Loop: Header=BB34_47 Depth=1
	s_or_b64 exec, exec, s[0:1]
.LBB34_163:                             ;   in Loop: Header=BB34_47 Depth=1
	s_or_b64 exec, exec, s[16:17]
.LBB34_164:                             ;   in Loop: Header=BB34_47 Depth=1
	s_andn2_saveexec_b64 s[0:1], s[10:11]
	s_or_b64 exec, exec, s[0:1]
                                        ; implicit-def: $vgpr2
.LBB34_165:                             ;   in Loop: Header=BB34_47 Depth=1
	s_andn2_saveexec_b64 s[0:1], s[8:9]
; %bb.166:                              ;   in Loop: Header=BB34_47 Depth=1
	v_or_b32_sdwa v2, v2, s23 dst_sel:DWORD dst_unused:UNUSED_PAD src0_sel:BYTE_3 src1_sel:DWORD
	v_cmp_eq_u64_e32 vcc, 0, v[12:13]
	v_cndmask_b32_e32 v3, v2, v3, vcc
; %bb.167:                              ;   in Loop: Header=BB34_47 Depth=1
	s_or_b64 exec, exec, s[0:1]
	v_and_b32_e32 v2, 0xffff0000, v8
	v_mul_f32_e32 v2, v22, v2
	global_store_byte v[18:19], v3, off offset:4
	v_and_b32_e32 v3, 0x7f800000, v2
	v_cmp_ne_u32_e32 vcc, s13, v3
                                        ; implicit-def: $vgpr3
	s_and_saveexec_b64 s[0:1], vcc
	s_xor_b64 s[0:1], exec, s[0:1]
; %bb.168:                              ;   in Loop: Header=BB34_47 Depth=1
	v_bfe_u32 v3, v2, 16, 1
	v_add3_u32 v3, v2, v3, s18
                                        ; implicit-def: $vgpr2
; %bb.169:                              ;   in Loop: Header=BB34_47 Depth=1
	s_andn2_saveexec_b64 s[0:1], s[0:1]
; %bb.170:                              ;   in Loop: Header=BB34_47 Depth=1
	v_or_b32_e32 v3, 0x10000, v2
	v_cmp_eq_u32_sdwa vcc, v2, v13 src0_sel:WORD_0 src1_sel:DWORD
	v_cndmask_b32_e32 v3, v3, v2, vcc
; %bb.171:                              ;   in Loop: Header=BB34_47 Depth=1
	s_or_b64 exec, exec, s[0:1]
	v_and_b32_e32 v2, 0xffff0000, v3
	v_and_b32_e32 v3, 0xffff0000, v4
	v_mul_f32_e32 v2, v2, v3
	v_and_b32_e32 v3, 0x7f800000, v2
	v_cmp_ne_u32_e32 vcc, s13, v3
                                        ; implicit-def: $vgpr3
	s_and_saveexec_b64 s[0:1], vcc
	s_xor_b64 s[0:1], exec, s[0:1]
; %bb.172:                              ;   in Loop: Header=BB34_47 Depth=1
	v_bfe_u32 v3, v2, 16, 1
	v_add3_u32 v3, v2, v3, s18
                                        ; implicit-def: $vgpr2
; %bb.173:                              ;   in Loop: Header=BB34_47 Depth=1
	s_andn2_saveexec_b64 s[0:1], s[0:1]
; %bb.174:                              ;   in Loop: Header=BB34_47 Depth=1
	v_or_b32_e32 v3, 0x10000, v2
	v_cmp_eq_u32_sdwa vcc, v2, v13 src0_sel:WORD_0 src1_sel:DWORD
	v_cndmask_b32_e32 v3, v3, v2, vcc
; %bb.175:                              ;   in Loop: Header=BB34_47 Depth=1
	s_or_b64 exec, exec, s[0:1]
	v_and_b32_e32 v2, 0xffff0000, v3
	v_mul_f32_e32 v2, v23, v2
	v_min_f32_e32 v2, 0x43e00000, v2
	v_max_f32_e32 v2, 0xc3e00000, v2
	v_and_b32_sdwa v4, v2, s19 dst_sel:DWORD dst_unused:UNUSED_PAD src0_sel:BYTE_3 src1_sel:DWORD
	v_and_b32_e32 v6, 0x7f800000, v2
	v_mov_b32_e32 v7, v13
	v_and_b32_e32 v12, 0x7fffff, v2
	v_or_b32_e32 v3, 0x7e, v4
	v_cmp_ne_u64_e32 vcc, s[4:5], v[6:7]
	s_and_saveexec_b64 s[0:1], vcc
	s_xor_b64 s[8:9], exec, s[0:1]
	s_cbranch_execz .LBB34_189
; %bb.176:                              ;   in Loop: Header=BB34_47 Depth=1
	v_and_b32_e32 v6, 0x7fffffff, v2
	v_mov_b32_e32 v7, v13
	v_cmp_gt_u64_e32 vcc, s[6:7], v[6:7]
	s_and_saveexec_b64 s[0:1], vcc
	s_xor_b64 s[10:11], exec, s[0:1]
	s_cbranch_execz .LBB34_188
; %bb.177:                              ;   in Loop: Header=BB34_47 Depth=1
	v_cmp_ne_u32_e32 vcc, 0, v2
	v_mov_b32_e32 v3, 0
	s_and_saveexec_b64 s[16:17], vcc
	s_cbranch_execz .LBB34_187
; %bb.178:                              ;   in Loop: Header=BB34_47 Depth=1
	v_bfe_u32 v2, v2, 23, 8
	v_sub_u32_e64 v3, s22, v2 clamp
	v_cmp_eq_u32_e32 vcc, 0, v2
	v_cndmask_b32_e32 v20, v3, v25, vcc
	v_add_u32_e32 v8, 0xffffff88, v2
	v_add_u32_e32 v2, 20, v20
	v_or_b32_e32 v6, 0x800000, v12
	v_lshlrev_b64 v[2:3], v2, -1
	v_cndmask_b32_e32 v12, v6, v12, vcc
	v_not_b32_e32 v3, v3
	v_not_b32_e32 v2, v2
	v_add_u32_e32 v6, 19, v20
	v_and_b32_e32 v3, 0, v3
	v_and_b32_e32 v2, v12, v2
	v_lshlrev_b64 v[6:7], v6, 1
	v_cmp_eq_u64_e64 s[0:1], v[2:3], v[6:7]
	v_lshrrev_b64 v[2:3], v20, v[12:13]
	v_and_b32_e32 v12, 0x100000, v2
	v_cndmask_b32_e32 v6, v8, v26, vcc
	v_cmp_eq_u64_e32 vcc, 0, v[12:13]
	v_lshrrev_b32_e32 v7, 23, v2
	s_and_b64 vcc, vcc, s[0:1]
	v_add3_u32 v7, v6, v20, v7
	v_subbrev_co_u32_e32 v6, vcc, 0, v2, vcc
	v_and_b32_e32 v6, 0xfffff, v6
	v_add_co_u32_e32 v2, vcc, v6, v2
	v_add_u32_e32 v8, -1, v7
	v_addc_co_u32_e32 v3, vcc, 0, v3, vcc
	v_cmp_ne_u32_e32 vcc, 0, v8
                                        ; implicit-def: $vgpr6
	s_and_saveexec_b64 s[0:1], vcc
	s_xor_b64 s[0:1], exec, s[0:1]
; %bb.179:                              ;   in Loop: Header=BB34_47 Depth=1
	v_and_b32_e32 v12, 0x1000000, v2
	v_cmp_eq_u64_e32 vcc, 0, v[12:13]
	v_cndmask_b32_e32 v6, v7, v8, vcc
	v_bfe_u32 v7, v2, 24, 1
	v_lshrrev_b64 v[2:3], v7, v[2:3]
; %bb.180:                              ;   in Loop: Header=BB34_47 Depth=1
	s_andn2_saveexec_b64 s[0:1], s[0:1]
; %bb.181:                              ;   in Loop: Header=BB34_47 Depth=1
	v_bfe_u32 v6, v2, 23, 1
; %bb.182:                              ;   in Loop: Header=BB34_47 Depth=1
	s_or_b64 exec, exec, s[0:1]
	v_lshrrev_b64 v[2:3], 20, v[2:3]
	v_cmp_gt_i32_e32 vcc, 16, v6
	v_cndmask_b32_e32 v3, 0, v3, vcc
	v_cndmask_b32_e32 v2, 7, v2, vcc
	v_cmp_ne_u32_e32 vcc, 0, v6
	v_cmp_ne_u64_e64 s[0:1], 0, v[2:3]
	s_or_b64 s[0:1], vcc, s[0:1]
                                        ; implicit-def: $vgpr3
	s_and_saveexec_b64 s[24:25], s[0:1]
	s_xor_b64 s[0:1], exec, s[24:25]
; %bb.183:                              ;   in Loop: Header=BB34_47 Depth=1
	v_min_i32_e32 v3, 15, v6
	v_lshl_or_b32 v3, v3, 3, v4
	v_and_or_b32 v3, v2, 7, v3
                                        ; implicit-def: $vgpr4
; %bb.184:                              ;   in Loop: Header=BB34_47 Depth=1
	s_andn2_saveexec_b64 s[0:1], s[0:1]
; %bb.185:                              ;   in Loop: Header=BB34_47 Depth=1
	v_mov_b32_e32 v3, v4
; %bb.186:                              ;   in Loop: Header=BB34_47 Depth=1
	s_or_b64 exec, exec, s[0:1]
.LBB34_187:                             ;   in Loop: Header=BB34_47 Depth=1
	s_or_b64 exec, exec, s[16:17]
.LBB34_188:                             ;   in Loop: Header=BB34_47 Depth=1
	s_andn2_saveexec_b64 s[0:1], s[10:11]
	s_or_b64 exec, exec, s[0:1]
                                        ; implicit-def: $vgpr2
.LBB34_189:                             ;   in Loop: Header=BB34_47 Depth=1
	s_andn2_saveexec_b64 s[0:1], s[8:9]
; %bb.190:                              ;   in Loop: Header=BB34_47 Depth=1
	v_or_b32_sdwa v2, v2, s23 dst_sel:DWORD dst_unused:UNUSED_PAD src0_sel:BYTE_3 src1_sel:DWORD
	v_cmp_eq_u64_e32 vcc, 0, v[12:13]
	v_cndmask_b32_e32 v3, v2, v3, vcc
; %bb.191:                              ;   in Loop: Header=BB34_47 Depth=1
	s_or_b64 exec, exec, s[0:1]
	v_lshlrev_b32_e32 v2, 16, v9
	v_mul_f32_e32 v2, v22, v2
	global_store_byte v[18:19], v3, off offset:5
	v_and_b32_e32 v3, 0x7f800000, v2
	v_cmp_ne_u32_e32 vcc, s13, v3
                                        ; implicit-def: $vgpr3
	s_and_saveexec_b64 s[0:1], vcc
	s_xor_b64 s[0:1], exec, s[0:1]
; %bb.192:                              ;   in Loop: Header=BB34_47 Depth=1
	v_bfe_u32 v3, v2, 16, 1
	v_add3_u32 v3, v2, v3, s18
                                        ; implicit-def: $vgpr2
; %bb.193:                              ;   in Loop: Header=BB34_47 Depth=1
	s_andn2_saveexec_b64 s[0:1], s[0:1]
; %bb.194:                              ;   in Loop: Header=BB34_47 Depth=1
	v_or_b32_e32 v3, 0x10000, v2
	v_cmp_eq_u32_sdwa vcc, v2, v13 src0_sel:WORD_0 src1_sel:DWORD
	v_cndmask_b32_e32 v3, v3, v2, vcc
; %bb.195:                              ;   in Loop: Header=BB34_47 Depth=1
	s_or_b64 exec, exec, s[0:1]
	v_and_b32_e32 v2, 0xffff0000, v3
	v_lshlrev_b32_e32 v3, 16, v5
	v_mul_f32_e32 v2, v2, v3
	v_and_b32_e32 v3, 0x7f800000, v2
	v_cmp_ne_u32_e32 vcc, s13, v3
                                        ; implicit-def: $vgpr3
	s_and_saveexec_b64 s[0:1], vcc
	s_xor_b64 s[0:1], exec, s[0:1]
; %bb.196:                              ;   in Loop: Header=BB34_47 Depth=1
	v_bfe_u32 v3, v2, 16, 1
	v_add3_u32 v3, v2, v3, s18
                                        ; implicit-def: $vgpr2
; %bb.197:                              ;   in Loop: Header=BB34_47 Depth=1
	s_andn2_saveexec_b64 s[0:1], s[0:1]
; %bb.198:                              ;   in Loop: Header=BB34_47 Depth=1
	v_or_b32_e32 v3, 0x10000, v2
	v_cmp_eq_u32_sdwa vcc, v2, v13 src0_sel:WORD_0 src1_sel:DWORD
	v_cndmask_b32_e32 v3, v3, v2, vcc
; %bb.199:                              ;   in Loop: Header=BB34_47 Depth=1
	s_or_b64 exec, exec, s[0:1]
	v_and_b32_e32 v2, 0xffff0000, v3
	v_mul_f32_e32 v2, v23, v2
	v_min_f32_e32 v2, 0x43e00000, v2
	v_max_f32_e32 v2, 0xc3e00000, v2
	v_and_b32_sdwa v4, v2, s19 dst_sel:DWORD dst_unused:UNUSED_PAD src0_sel:BYTE_3 src1_sel:DWORD
	v_and_b32_e32 v6, 0x7f800000, v2
	v_mov_b32_e32 v7, v13
	v_and_b32_e32 v12, 0x7fffff, v2
	v_or_b32_e32 v3, 0x7e, v4
	v_cmp_ne_u64_e32 vcc, s[4:5], v[6:7]
	s_and_saveexec_b64 s[0:1], vcc
	s_xor_b64 s[8:9], exec, s[0:1]
	s_cbranch_execz .LBB34_213
; %bb.200:                              ;   in Loop: Header=BB34_47 Depth=1
	v_and_b32_e32 v6, 0x7fffffff, v2
	v_mov_b32_e32 v7, v13
	v_cmp_gt_u64_e32 vcc, s[6:7], v[6:7]
	s_and_saveexec_b64 s[0:1], vcc
	s_xor_b64 s[10:11], exec, s[0:1]
	s_cbranch_execz .LBB34_212
; %bb.201:                              ;   in Loop: Header=BB34_47 Depth=1
	v_cmp_ne_u32_e32 vcc, 0, v2
	v_mov_b32_e32 v3, 0
	s_and_saveexec_b64 s[16:17], vcc
	s_cbranch_execz .LBB34_211
; %bb.202:                              ;   in Loop: Header=BB34_47 Depth=1
	v_bfe_u32 v2, v2, 23, 8
	v_sub_u32_e64 v3, s22, v2 clamp
	v_cmp_eq_u32_e32 vcc, 0, v2
	v_cndmask_b32_e32 v20, v3, v25, vcc
	v_add_u32_e32 v8, 0xffffff88, v2
	v_add_u32_e32 v2, 20, v20
	v_or_b32_e32 v6, 0x800000, v12
	v_lshlrev_b64 v[2:3], v2, -1
	v_cndmask_b32_e32 v12, v6, v12, vcc
	v_not_b32_e32 v3, v3
	v_not_b32_e32 v2, v2
	v_add_u32_e32 v6, 19, v20
	v_and_b32_e32 v3, 0, v3
	v_and_b32_e32 v2, v12, v2
	v_lshlrev_b64 v[6:7], v6, 1
	v_cmp_eq_u64_e64 s[0:1], v[2:3], v[6:7]
	v_lshrrev_b64 v[2:3], v20, v[12:13]
	v_and_b32_e32 v12, 0x100000, v2
	v_cndmask_b32_e32 v6, v8, v26, vcc
	v_cmp_eq_u64_e32 vcc, 0, v[12:13]
	v_lshrrev_b32_e32 v7, 23, v2
	s_and_b64 vcc, vcc, s[0:1]
	v_add3_u32 v7, v6, v20, v7
	v_subbrev_co_u32_e32 v6, vcc, 0, v2, vcc
	v_and_b32_e32 v6, 0xfffff, v6
	v_add_co_u32_e32 v2, vcc, v6, v2
	v_add_u32_e32 v8, -1, v7
	v_addc_co_u32_e32 v3, vcc, 0, v3, vcc
	v_cmp_ne_u32_e32 vcc, 0, v8
                                        ; implicit-def: $vgpr6
	s_and_saveexec_b64 s[0:1], vcc
	s_xor_b64 s[0:1], exec, s[0:1]
; %bb.203:                              ;   in Loop: Header=BB34_47 Depth=1
	v_and_b32_e32 v12, 0x1000000, v2
	v_cmp_eq_u64_e32 vcc, 0, v[12:13]
	v_cndmask_b32_e32 v6, v7, v8, vcc
	v_bfe_u32 v7, v2, 24, 1
	v_lshrrev_b64 v[2:3], v7, v[2:3]
; %bb.204:                              ;   in Loop: Header=BB34_47 Depth=1
	s_andn2_saveexec_b64 s[0:1], s[0:1]
; %bb.205:                              ;   in Loop: Header=BB34_47 Depth=1
	v_bfe_u32 v6, v2, 23, 1
; %bb.206:                              ;   in Loop: Header=BB34_47 Depth=1
	s_or_b64 exec, exec, s[0:1]
	v_lshrrev_b64 v[2:3], 20, v[2:3]
	v_cmp_gt_i32_e32 vcc, 16, v6
	v_cndmask_b32_e32 v3, 0, v3, vcc
	v_cndmask_b32_e32 v2, 7, v2, vcc
	v_cmp_ne_u32_e32 vcc, 0, v6
	v_cmp_ne_u64_e64 s[0:1], 0, v[2:3]
	s_or_b64 s[0:1], vcc, s[0:1]
                                        ; implicit-def: $vgpr3
	s_and_saveexec_b64 s[24:25], s[0:1]
	s_xor_b64 s[0:1], exec, s[24:25]
; %bb.207:                              ;   in Loop: Header=BB34_47 Depth=1
	v_min_i32_e32 v3, 15, v6
	v_lshl_or_b32 v3, v3, 3, v4
	v_and_or_b32 v3, v2, 7, v3
                                        ; implicit-def: $vgpr4
; %bb.208:                              ;   in Loop: Header=BB34_47 Depth=1
	s_andn2_saveexec_b64 s[0:1], s[0:1]
; %bb.209:                              ;   in Loop: Header=BB34_47 Depth=1
	v_mov_b32_e32 v3, v4
; %bb.210:                              ;   in Loop: Header=BB34_47 Depth=1
	s_or_b64 exec, exec, s[0:1]
.LBB34_211:                             ;   in Loop: Header=BB34_47 Depth=1
	s_or_b64 exec, exec, s[16:17]
.LBB34_212:                             ;   in Loop: Header=BB34_47 Depth=1
	s_andn2_saveexec_b64 s[0:1], s[10:11]
	s_or_b64 exec, exec, s[0:1]
                                        ; implicit-def: $vgpr2
.LBB34_213:                             ;   in Loop: Header=BB34_47 Depth=1
	s_andn2_saveexec_b64 s[0:1], s[8:9]
; %bb.214:                              ;   in Loop: Header=BB34_47 Depth=1
	v_or_b32_sdwa v2, v2, s23 dst_sel:DWORD dst_unused:UNUSED_PAD src0_sel:BYTE_3 src1_sel:DWORD
	v_cmp_eq_u64_e32 vcc, 0, v[12:13]
	v_cndmask_b32_e32 v3, v2, v3, vcc
; %bb.215:                              ;   in Loop: Header=BB34_47 Depth=1
	s_or_b64 exec, exec, s[0:1]
	v_and_b32_e32 v2, 0xffff0000, v9
	v_mul_f32_e32 v2, v22, v2
	global_store_byte v[18:19], v3, off offset:6
	v_and_b32_e32 v3, 0x7f800000, v2
	v_cmp_ne_u32_e32 vcc, s13, v3
                                        ; implicit-def: $vgpr3
	s_and_saveexec_b64 s[0:1], vcc
	s_xor_b64 s[0:1], exec, s[0:1]
; %bb.216:                              ;   in Loop: Header=BB34_47 Depth=1
	v_bfe_u32 v3, v2, 16, 1
	v_add3_u32 v3, v2, v3, s18
                                        ; implicit-def: $vgpr2
; %bb.217:                              ;   in Loop: Header=BB34_47 Depth=1
	s_andn2_saveexec_b64 s[0:1], s[0:1]
; %bb.218:                              ;   in Loop: Header=BB34_47 Depth=1
	v_or_b32_e32 v3, 0x10000, v2
	v_cmp_eq_u32_sdwa vcc, v2, v13 src0_sel:WORD_0 src1_sel:DWORD
	v_cndmask_b32_e32 v3, v3, v2, vcc
; %bb.219:                              ;   in Loop: Header=BB34_47 Depth=1
	s_or_b64 exec, exec, s[0:1]
	v_and_b32_e32 v2, 0xffff0000, v3
	v_and_b32_e32 v3, 0xffff0000, v5
	v_mul_f32_e32 v2, v2, v3
	v_and_b32_e32 v3, 0x7f800000, v2
	v_cmp_ne_u32_e32 vcc, s13, v3
                                        ; implicit-def: $vgpr3
	s_and_saveexec_b64 s[0:1], vcc
	s_xor_b64 s[0:1], exec, s[0:1]
; %bb.220:                              ;   in Loop: Header=BB34_47 Depth=1
	v_bfe_u32 v3, v2, 16, 1
	v_add3_u32 v3, v2, v3, s18
                                        ; implicit-def: $vgpr2
; %bb.221:                              ;   in Loop: Header=BB34_47 Depth=1
	s_andn2_saveexec_b64 s[0:1], s[0:1]
; %bb.222:                              ;   in Loop: Header=BB34_47 Depth=1
	v_or_b32_e32 v3, 0x10000, v2
	v_cmp_eq_u32_sdwa vcc, v2, v13 src0_sel:WORD_0 src1_sel:DWORD
	v_cndmask_b32_e32 v3, v3, v2, vcc
; %bb.223:                              ;   in Loop: Header=BB34_47 Depth=1
	s_or_b64 exec, exec, s[0:1]
	v_and_b32_e32 v2, 0xffff0000, v3
	v_mul_f32_e32 v2, v23, v2
	v_min_f32_e32 v2, 0x43e00000, v2
	v_max_f32_e32 v2, 0xc3e00000, v2
	v_and_b32_sdwa v4, v2, s19 dst_sel:DWORD dst_unused:UNUSED_PAD src0_sel:BYTE_3 src1_sel:DWORD
	v_and_b32_e32 v6, 0x7f800000, v2
	v_mov_b32_e32 v7, v13
	v_and_b32_e32 v12, 0x7fffff, v2
	v_or_b32_e32 v3, 0x7e, v4
	v_cmp_ne_u64_e32 vcc, s[4:5], v[6:7]
	s_and_saveexec_b64 s[0:1], vcc
	s_xor_b64 s[8:9], exec, s[0:1]
	s_cbranch_execz .LBB34_237
; %bb.224:                              ;   in Loop: Header=BB34_47 Depth=1
	v_and_b32_e32 v6, 0x7fffffff, v2
	v_mov_b32_e32 v7, v13
	v_cmp_gt_u64_e32 vcc, s[6:7], v[6:7]
	s_and_saveexec_b64 s[0:1], vcc
	s_xor_b64 s[10:11], exec, s[0:1]
	s_cbranch_execz .LBB34_236
; %bb.225:                              ;   in Loop: Header=BB34_47 Depth=1
	v_cmp_ne_u32_e32 vcc, 0, v2
	v_mov_b32_e32 v3, 0
	s_and_saveexec_b64 s[16:17], vcc
	s_cbranch_execz .LBB34_235
; %bb.226:                              ;   in Loop: Header=BB34_47 Depth=1
	v_bfe_u32 v2, v2, 23, 8
	v_sub_u32_e64 v3, s22, v2 clamp
	v_cmp_eq_u32_e32 vcc, 0, v2
	v_cndmask_b32_e32 v9, v3, v25, vcc
	v_add_u32_e32 v8, 0xffffff88, v2
	v_add_u32_e32 v2, 20, v9
	v_or_b32_e32 v5, 0x800000, v12
	v_lshlrev_b64 v[2:3], v2, -1
	v_cndmask_b32_e32 v12, v5, v12, vcc
	v_not_b32_e32 v3, v3
	v_not_b32_e32 v2, v2
	v_add_u32_e32 v5, 19, v9
	v_and_b32_e32 v3, 0, v3
	v_and_b32_e32 v2, v12, v2
	v_lshlrev_b64 v[6:7], v5, 1
	v_cmp_eq_u64_e64 s[0:1], v[2:3], v[6:7]
	v_lshrrev_b64 v[2:3], v9, v[12:13]
	v_and_b32_e32 v12, 0x100000, v2
	v_cndmask_b32_e32 v5, v8, v26, vcc
	v_cmp_eq_u64_e32 vcc, 0, v[12:13]
	v_lshrrev_b32_e32 v6, 23, v2
	s_and_b64 vcc, vcc, s[0:1]
	v_add3_u32 v6, v5, v9, v6
	v_subbrev_co_u32_e32 v5, vcc, 0, v2, vcc
	v_and_b32_e32 v5, 0xfffff, v5
	v_add_co_u32_e32 v2, vcc, v5, v2
	v_add_u32_e32 v7, -1, v6
	v_addc_co_u32_e32 v3, vcc, 0, v3, vcc
	v_cmp_ne_u32_e32 vcc, 0, v7
                                        ; implicit-def: $vgpr5
	s_and_saveexec_b64 s[0:1], vcc
	s_xor_b64 s[0:1], exec, s[0:1]
; %bb.227:                              ;   in Loop: Header=BB34_47 Depth=1
	v_and_b32_e32 v12, 0x1000000, v2
	v_cmp_eq_u64_e32 vcc, 0, v[12:13]
	v_cndmask_b32_e32 v5, v6, v7, vcc
	v_bfe_u32 v6, v2, 24, 1
	v_lshrrev_b64 v[2:3], v6, v[2:3]
; %bb.228:                              ;   in Loop: Header=BB34_47 Depth=1
	s_andn2_saveexec_b64 s[0:1], s[0:1]
; %bb.229:                              ;   in Loop: Header=BB34_47 Depth=1
	v_bfe_u32 v5, v2, 23, 1
; %bb.230:                              ;   in Loop: Header=BB34_47 Depth=1
	s_or_b64 exec, exec, s[0:1]
	v_lshrrev_b64 v[2:3], 20, v[2:3]
	v_cmp_gt_i32_e32 vcc, 16, v5
	v_cndmask_b32_e32 v3, 0, v3, vcc
	v_cndmask_b32_e32 v2, 7, v2, vcc
	v_cmp_ne_u32_e32 vcc, 0, v5
	v_cmp_ne_u64_e64 s[0:1], 0, v[2:3]
	s_or_b64 s[0:1], vcc, s[0:1]
                                        ; implicit-def: $vgpr3
	s_and_saveexec_b64 s[24:25], s[0:1]
	s_xor_b64 s[0:1], exec, s[24:25]
; %bb.231:                              ;   in Loop: Header=BB34_47 Depth=1
	v_min_i32_e32 v3, 15, v5
	v_lshl_or_b32 v3, v3, 3, v4
	v_and_or_b32 v3, v2, 7, v3
                                        ; implicit-def: $vgpr4
; %bb.232:                              ;   in Loop: Header=BB34_47 Depth=1
	s_andn2_saveexec_b64 s[0:1], s[0:1]
; %bb.233:                              ;   in Loop: Header=BB34_47 Depth=1
	v_mov_b32_e32 v3, v4
; %bb.234:                              ;   in Loop: Header=BB34_47 Depth=1
	s_or_b64 exec, exec, s[0:1]
.LBB34_235:                             ;   in Loop: Header=BB34_47 Depth=1
	s_or_b64 exec, exec, s[16:17]
.LBB34_236:                             ;   in Loop: Header=BB34_47 Depth=1
	s_andn2_saveexec_b64 s[0:1], s[10:11]
	s_or_b64 exec, exec, s[0:1]
                                        ; implicit-def: $vgpr2
.LBB34_237:                             ;   in Loop: Header=BB34_47 Depth=1
	s_andn2_saveexec_b64 s[0:1], s[8:9]
	s_cbranch_execz .LBB34_46
; %bb.238:                              ;   in Loop: Header=BB34_47 Depth=1
	v_or_b32_sdwa v2, v2, s23 dst_sel:DWORD dst_unused:UNUSED_PAD src0_sel:BYTE_3 src1_sel:DWORD
	v_cmp_eq_u64_e32 vcc, 0, v[12:13]
	v_cndmask_b32_e32 v3, v2, v3, vcc
	s_branch .LBB34_46
.LBB34_239:
	s_endpgm
	.section	.rodata,"a",@progbits
	.p2align	6, 0x0
	.amdhsa_kernel _ZN4vllm42fused_add_rms_norm_static_fp8_quant_kernelIN3c108BFloat16ELi8ENS1_13Float8_e4m3fnEEENSt9enable_ifIXaagtT0_Li0Esr12_typeConvertIT_EE6existsEvE4typeEPT1_PS5_iSA_PKS5_PKffii
		.amdhsa_group_segment_fixed_size 68
		.amdhsa_private_segment_fixed_size 0
		.amdhsa_kernarg_size 320
		.amdhsa_user_sgpr_count 6
		.amdhsa_user_sgpr_private_segment_buffer 1
		.amdhsa_user_sgpr_dispatch_ptr 0
		.amdhsa_user_sgpr_queue_ptr 0
		.amdhsa_user_sgpr_kernarg_segment_ptr 1
		.amdhsa_user_sgpr_dispatch_id 0
		.amdhsa_user_sgpr_flat_scratch_init 0
		.amdhsa_user_sgpr_kernarg_preload_length 0
		.amdhsa_user_sgpr_kernarg_preload_offset 0
		.amdhsa_user_sgpr_private_segment_size 0
		.amdhsa_uses_dynamic_stack 0
		.amdhsa_system_sgpr_private_segment_wavefront_offset 0
		.amdhsa_system_sgpr_workgroup_id_x 1
		.amdhsa_system_sgpr_workgroup_id_y 0
		.amdhsa_system_sgpr_workgroup_id_z 0
		.amdhsa_system_sgpr_workgroup_info 0
		.amdhsa_system_vgpr_workitem_id 0
		.amdhsa_next_free_vgpr 31
		.amdhsa_next_free_sgpr 27
		.amdhsa_accum_offset 32
		.amdhsa_reserve_vcc 1
		.amdhsa_reserve_flat_scratch 0
		.amdhsa_float_round_mode_32 0
		.amdhsa_float_round_mode_16_64 0
		.amdhsa_float_denorm_mode_32 3
		.amdhsa_float_denorm_mode_16_64 3
		.amdhsa_dx10_clamp 1
		.amdhsa_ieee_mode 1
		.amdhsa_fp16_overflow 0
		.amdhsa_tg_split 0
		.amdhsa_exception_fp_ieee_invalid_op 0
		.amdhsa_exception_fp_denorm_src 0
		.amdhsa_exception_fp_ieee_div_zero 0
		.amdhsa_exception_fp_ieee_overflow 0
		.amdhsa_exception_fp_ieee_underflow 0
		.amdhsa_exception_fp_ieee_inexact 0
		.amdhsa_exception_int_div_zero 0
	.end_amdhsa_kernel
	.section	.text._ZN4vllm42fused_add_rms_norm_static_fp8_quant_kernelIN3c108BFloat16ELi8ENS1_13Float8_e4m3fnEEENSt9enable_ifIXaagtT0_Li0Esr12_typeConvertIT_EE6existsEvE4typeEPT1_PS5_iSA_PKS5_PKffii,"axG",@progbits,_ZN4vllm42fused_add_rms_norm_static_fp8_quant_kernelIN3c108BFloat16ELi8ENS1_13Float8_e4m3fnEEENSt9enable_ifIXaagtT0_Li0Esr12_typeConvertIT_EE6existsEvE4typeEPT1_PS5_iSA_PKS5_PKffii,comdat
.Lfunc_end34:
	.size	_ZN4vllm42fused_add_rms_norm_static_fp8_quant_kernelIN3c108BFloat16ELi8ENS1_13Float8_e4m3fnEEENSt9enable_ifIXaagtT0_Li0Esr12_typeConvertIT_EE6existsEvE4typeEPT1_PS5_iSA_PKS5_PKffii, .Lfunc_end34-_ZN4vllm42fused_add_rms_norm_static_fp8_quant_kernelIN3c108BFloat16ELi8ENS1_13Float8_e4m3fnEEENSt9enable_ifIXaagtT0_Li0Esr12_typeConvertIT_EE6existsEvE4typeEPT1_PS5_iSA_PKS5_PKffii
                                        ; -- End function
	.section	.AMDGPU.csdata,"",@progbits
; Kernel info:
; codeLenInByte = 7280
; NumSgprs: 31
; NumVgprs: 31
; NumAgprs: 0
; TotalNumVgprs: 31
; ScratchSize: 0
; MemoryBound: 0
; FloatMode: 240
; IeeeMode: 1
; LDSByteSize: 68 bytes/workgroup (compile time only)
; SGPRBlocks: 3
; VGPRBlocks: 3
; NumSGPRsForWavesPerEU: 31
; NumVGPRsForWavesPerEU: 31
; AccumOffset: 32
; Occupancy: 8
; WaveLimiterHint : 0
; COMPUTE_PGM_RSRC2:SCRATCH_EN: 0
; COMPUTE_PGM_RSRC2:USER_SGPR: 6
; COMPUTE_PGM_RSRC2:TRAP_HANDLER: 0
; COMPUTE_PGM_RSRC2:TGID_X_EN: 1
; COMPUTE_PGM_RSRC2:TGID_Y_EN: 0
; COMPUTE_PGM_RSRC2:TGID_Z_EN: 0
; COMPUTE_PGM_RSRC2:TIDIG_COMP_CNT: 0
; COMPUTE_PGM_RSRC3_GFX90A:ACCUM_OFFSET: 7
; COMPUTE_PGM_RSRC3_GFX90A:TG_SPLIT: 0
	.section	.text._ZN4vllm42fused_add_rms_norm_static_fp8_quant_kernelIN3c108BFloat16ELi8ENS1_15Float8_e4m3fnuzEEENSt9enable_ifIXaagtT0_Li0Esr12_typeConvertIT_EE6existsEvE4typeEPT1_PS5_iSA_PKS5_PKffii,"axG",@progbits,_ZN4vllm42fused_add_rms_norm_static_fp8_quant_kernelIN3c108BFloat16ELi8ENS1_15Float8_e4m3fnuzEEENSt9enable_ifIXaagtT0_Li0Esr12_typeConvertIT_EE6existsEvE4typeEPT1_PS5_iSA_PKS5_PKffii,comdat
	.protected	_ZN4vllm42fused_add_rms_norm_static_fp8_quant_kernelIN3c108BFloat16ELi8ENS1_15Float8_e4m3fnuzEEENSt9enable_ifIXaagtT0_Li0Esr12_typeConvertIT_EE6existsEvE4typeEPT1_PS5_iSA_PKS5_PKffii ; -- Begin function _ZN4vllm42fused_add_rms_norm_static_fp8_quant_kernelIN3c108BFloat16ELi8ENS1_15Float8_e4m3fnuzEEENSt9enable_ifIXaagtT0_Li0Esr12_typeConvertIT_EE6existsEvE4typeEPT1_PS5_iSA_PKS5_PKffii
	.globl	_ZN4vllm42fused_add_rms_norm_static_fp8_quant_kernelIN3c108BFloat16ELi8ENS1_15Float8_e4m3fnuzEEENSt9enable_ifIXaagtT0_Li0Esr12_typeConvertIT_EE6existsEvE4typeEPT1_PS5_iSA_PKS5_PKffii
	.p2align	8
	.type	_ZN4vllm42fused_add_rms_norm_static_fp8_quant_kernelIN3c108BFloat16ELi8ENS1_15Float8_e4m3fnuzEEENSt9enable_ifIXaagtT0_Li0Esr12_typeConvertIT_EE6existsEvE4typeEPT1_PS5_iSA_PKS5_PKffii,@function
_ZN4vllm42fused_add_rms_norm_static_fp8_quant_kernelIN3c108BFloat16ELi8ENS1_15Float8_e4m3fnuzEEENSt9enable_ifIXaagtT0_Li0Esr12_typeConvertIT_EE6existsEvE4typeEPT1_PS5_iSA_PKS5_PKffii: ; @_ZN4vllm42fused_add_rms_norm_static_fp8_quant_kernelIN3c108BFloat16ELi8ENS1_15Float8_e4m3fnuzEEENSt9enable_ifIXaagtT0_Li0Esr12_typeConvertIT_EE6existsEvE4typeEPT1_PS5_iSA_PKS5_PKffii
; %bb.0:
	s_load_dword s22, s[4:5], 0x38
	s_load_dwordx2 s[12:13], s[4:5], 0x18
                                        ; implicit-def: $sgpr16
                                        ; implicit-def: $sgpr7
	s_waitcnt lgkmcnt(0)
	s_ashr_i32 s0, s22, 31
	s_lshr_b32 s0, s0, 29
	s_add_i32 s0, s22, s0
	s_ashr_i32 s20, s0, 3
	v_cmp_gt_i32_e64 s[0:1], s20, v0
	v_cmp_le_i32_e32 vcc, s20, v0
	s_and_saveexec_b64 s[2:3], vcc
	s_xor_b64 s[2:3], exec, s[2:3]
	s_cbranch_execz .LBB35_2
; %bb.1:
	s_load_dword s7, s[4:5], 0x4c
	s_mov_b32 s16, 0
	s_waitcnt lgkmcnt(0)
	s_and_b32 s7, s7, 0xffff
.LBB35_2:
	s_or_saveexec_b64 s[2:3], s[2:3]
	s_load_dwordx2 s[14:15], s[4:5], 0x0
	s_load_dwordx4 s[8:11], s[4:5], 0x20
	v_mov_b32_e32 v1, s16
	v_mov_b32_e32 v10, s7
	s_mul_i32 s21, s20, s6
	s_xor_b64 exec, exec, s[2:3]
	s_cbranch_execz .LBB35_38
; %bb.3:
	s_load_dword s7, s[4:5], 0x10
	s_load_dword s23, s[4:5], 0x4c
	s_load_dwordx2 s[16:17], s[4:5], 0x8
	s_mov_b64 s[18:19], 0
	v_mov_b32_e32 v10, 0
	s_waitcnt lgkmcnt(0)
	s_ashr_i32 s24, s7, 31
	s_lshr_b32 s24, s24, 29
	s_add_i32 s7, s7, s24
	s_ashr_i32 s24, s7, 3
	s_and_b32 s23, s23, 0xffff
	s_mul_i32 s24, s24, s6
	v_mov_b32_e32 v11, s17
	v_mov_b32_e32 v12, s13
	s_mov_b32 s17, 0x7f800000
	s_movk_i32 s25, 0x7fff
	s_mov_b32 s26, 0x7060302
	v_mov_b32_e32 v1, 0
	v_mov_b32_e32 v13, v0
	s_branch .LBB35_5
.LBB35_4:                               ;   in Loop: Header=BB35_5 Depth=1
	s_or_b64 exec, exec, s[6:7]
	v_and_b32_e32 v19, 0xffff0000, v8
	v_and_b32_e32 v18, 0xffff0000, v15
	;; [unrolled: 1-line block ×4, first 2 shown]
	v_pk_mul_f32 v[18:19], v[18:19], v[18:19]
	v_and_b32_e32 v21, 0xffff0000, v5
	v_and_b32_e32 v20, 0xffff0000, v4
	v_pk_fma_f32 v[2:3], v[2:3], v[2:3], v[18:19]
	v_and_b32_e32 v19, 0xffff0000, v17
	v_and_b32_e32 v18, 0xffff0000, v9
	v_pk_mul_f32 v[20:21], v[20:21], v[20:21]
	v_pk_fma_f32 v[18:19], v[18:19], v[18:19], v[20:21]
	v_add_f32_e32 v2, v2, v3
	v_add_f32_e32 v2, v2, v18
	v_add_u32_e32 v13, s23, v13
	v_add_f32_e32 v2, v2, v19
	v_cmp_le_i32_e32 vcc, s20, v13
	v_add_f32_e32 v1, v1, v2
	v_perm_b32 v5, v5, v17, s26
	v_perm_b32 v4, v4, v9, s26
	;; [unrolled: 1-line block ×4, first 2 shown]
	s_or_b64 s[18:19], vcc, s[18:19]
	global_store_dwordx4 v[6:7], v[2:5], off
	s_andn2_b64 exec, exec, s[18:19]
	s_cbranch_execz .LBB35_37
.LBB35_5:                               ; =>This Inner Loop Header: Depth=1
	v_add_u32_e32 v2, s24, v13
	v_ashrrev_i32_e32 v3, 31, v2
	v_add_u32_e32 v4, s21, v13
	v_lshlrev_b64 v[2:3], 4, v[2:3]
	v_add_co_u32_e32 v8, vcc, s16, v2
	v_ashrrev_i32_e32 v5, 31, v4
	v_addc_co_u32_e32 v9, vcc, v11, v3, vcc
	v_lshlrev_b64 v[2:3], 4, v[4:5]
	v_add_co_u32_e32 v6, vcc, s12, v2
	v_addc_co_u32_e32 v7, vcc, v12, v3, vcc
	global_load_dword v15, v[6:7], off
	global_load_dwordx4 v[2:5], v[8:9], off
	s_waitcnt vmcnt(1)
	v_lshlrev_b32_e32 v8, 16, v15
	s_waitcnt vmcnt(0)
	v_lshlrev_b32_e32 v14, 16, v2
	v_pk_add_f32 v[8:9], v[8:9], v[14:15] op_sel_hi:[0,1]
	v_and_b32_e32 v9, 0x7f800000, v8
	v_cmp_ne_u32_e32 vcc, s17, v9
                                        ; implicit-def: $vgpr14
	s_and_saveexec_b64 s[6:7], vcc
	s_xor_b64 s[6:7], exec, s[6:7]
; %bb.6:                                ;   in Loop: Header=BB35_5 Depth=1
	v_bfe_u32 v9, v8, 16, 1
	v_add3_u32 v14, v8, v9, s25
                                        ; implicit-def: $vgpr8_vgpr9
; %bb.7:                                ;   in Loop: Header=BB35_5 Depth=1
	s_andn2_saveexec_b64 s[6:7], s[6:7]
; %bb.8:                                ;   in Loop: Header=BB35_5 Depth=1
	v_or_b32_e32 v9, 0x10000, v8
	v_cmp_eq_u32_sdwa vcc, v8, v10 src0_sel:WORD_0 src1_sel:DWORD
	v_cndmask_b32_e32 v14, v9, v8, vcc
; %bb.9:                                ;   in Loop: Header=BB35_5 Depth=1
	s_or_b64 exec, exec, s[6:7]
	v_and_b32_e32 v8, 0xffff0000, v15
	v_and_b32_e32 v2, 0xffff0000, v2
	v_pk_add_f32 v[8:9], v[8:9], v[2:3] op_sel_hi:[0,1]
	v_and_b32_e32 v2, 0x7f800000, v8
	v_cmp_ne_u32_e32 vcc, s17, v2
                                        ; implicit-def: $vgpr15
	s_and_saveexec_b64 s[6:7], vcc
	s_xor_b64 s[6:7], exec, s[6:7]
; %bb.10:                               ;   in Loop: Header=BB35_5 Depth=1
	v_bfe_u32 v2, v8, 16, 1
	v_add3_u32 v15, v8, v2, s25
                                        ; implicit-def: $vgpr8_vgpr9
; %bb.11:                               ;   in Loop: Header=BB35_5 Depth=1
	s_andn2_saveexec_b64 s[6:7], s[6:7]
; %bb.12:                               ;   in Loop: Header=BB35_5 Depth=1
	v_or_b32_e32 v2, 0x10000, v8
	v_cmp_eq_u32_sdwa vcc, v8, v10 src0_sel:WORD_0 src1_sel:DWORD
	v_cndmask_b32_e32 v15, v2, v8, vcc
; %bb.13:                               ;   in Loop: Header=BB35_5 Depth=1
	s_or_b64 exec, exec, s[6:7]
	global_load_dword v2, v[6:7], off offset:4
	v_lshlrev_b32_e32 v16, 16, v3
	s_waitcnt vmcnt(0)
	v_lshlrev_b32_e32 v8, 16, v2
	v_pk_add_f32 v[8:9], v[8:9], v[16:17] op_sel_hi:[0,1]
	v_and_b32_e32 v9, 0x7f800000, v8
	v_cmp_ne_u32_e32 vcc, s17, v9
                                        ; implicit-def: $vgpr16
	s_and_saveexec_b64 s[6:7], vcc
	s_xor_b64 s[6:7], exec, s[6:7]
; %bb.14:                               ;   in Loop: Header=BB35_5 Depth=1
	v_bfe_u32 v9, v8, 16, 1
	v_add3_u32 v16, v8, v9, s25
                                        ; implicit-def: $vgpr8_vgpr9
; %bb.15:                               ;   in Loop: Header=BB35_5 Depth=1
	s_andn2_saveexec_b64 s[6:7], s[6:7]
; %bb.16:                               ;   in Loop: Header=BB35_5 Depth=1
	v_or_b32_e32 v9, 0x10000, v8
	v_cmp_eq_u32_sdwa vcc, v8, v10 src0_sel:WORD_0 src1_sel:DWORD
	v_cndmask_b32_e32 v16, v9, v8, vcc
; %bb.17:                               ;   in Loop: Header=BB35_5 Depth=1
	s_or_b64 exec, exec, s[6:7]
	v_and_b32_e32 v2, 0xffff0000, v2
	v_and_b32_e32 v8, 0xffff0000, v3
	v_pk_add_f32 v[2:3], v[2:3], v[8:9] op_sel_hi:[0,1]
	v_and_b32_e32 v3, 0x7f800000, v2
	v_cmp_ne_u32_e32 vcc, s17, v3
                                        ; implicit-def: $vgpr8
	s_and_saveexec_b64 s[6:7], vcc
	s_xor_b64 s[6:7], exec, s[6:7]
; %bb.18:                               ;   in Loop: Header=BB35_5 Depth=1
	v_bfe_u32 v3, v2, 16, 1
	v_add3_u32 v8, v2, v3, s25
                                        ; implicit-def: $vgpr2_vgpr3
; %bb.19:                               ;   in Loop: Header=BB35_5 Depth=1
	s_andn2_saveexec_b64 s[6:7], s[6:7]
; %bb.20:                               ;   in Loop: Header=BB35_5 Depth=1
	v_or_b32_e32 v3, 0x10000, v2
	v_cmp_eq_u32_sdwa vcc, v2, v10 src0_sel:WORD_0 src1_sel:DWORD
	v_cndmask_b32_e32 v8, v3, v2, vcc
; %bb.21:                               ;   in Loop: Header=BB35_5 Depth=1
	s_or_b64 exec, exec, s[6:7]
	global_load_dword v17, v[6:7], off offset:8
	v_lshlrev_b32_e32 v18, 16, v4
                                        ; implicit-def: $vgpr9
	s_waitcnt vmcnt(0)
	v_lshlrev_b32_e32 v2, 16, v17
	v_pk_add_f32 v[2:3], v[2:3], v[18:19] op_sel_hi:[0,1]
	v_and_b32_e32 v3, 0x7f800000, v2
	v_cmp_ne_u32_e32 vcc, s17, v3
	s_and_saveexec_b64 s[6:7], vcc
	s_xor_b64 s[6:7], exec, s[6:7]
; %bb.22:                               ;   in Loop: Header=BB35_5 Depth=1
	v_bfe_u32 v3, v2, 16, 1
	v_add3_u32 v9, v2, v3, s25
                                        ; implicit-def: $vgpr2_vgpr3
; %bb.23:                               ;   in Loop: Header=BB35_5 Depth=1
	s_andn2_saveexec_b64 s[6:7], s[6:7]
; %bb.24:                               ;   in Loop: Header=BB35_5 Depth=1
	v_or_b32_e32 v3, 0x10000, v2
	v_cmp_eq_u32_sdwa vcc, v2, v10 src0_sel:WORD_0 src1_sel:DWORD
	v_cndmask_b32_e32 v9, v3, v2, vcc
; %bb.25:                               ;   in Loop: Header=BB35_5 Depth=1
	s_or_b64 exec, exec, s[6:7]
	v_and_b32_e32 v2, 0xffff0000, v17
	v_and_b32_e32 v4, 0xffff0000, v4
	v_pk_add_f32 v[2:3], v[2:3], v[4:5] op_sel_hi:[0,1]
	v_and_b32_e32 v3, 0x7f800000, v2
	v_cmp_ne_u32_e32 vcc, s17, v3
                                        ; implicit-def: $vgpr4
	s_and_saveexec_b64 s[6:7], vcc
	s_xor_b64 s[6:7], exec, s[6:7]
; %bb.26:                               ;   in Loop: Header=BB35_5 Depth=1
	v_bfe_u32 v3, v2, 16, 1
	v_add3_u32 v4, v2, v3, s25
                                        ; implicit-def: $vgpr2_vgpr3
; %bb.27:                               ;   in Loop: Header=BB35_5 Depth=1
	s_andn2_saveexec_b64 s[6:7], s[6:7]
; %bb.28:                               ;   in Loop: Header=BB35_5 Depth=1
	v_or_b32_e32 v3, 0x10000, v2
	v_cmp_eq_u32_sdwa vcc, v2, v10 src0_sel:WORD_0 src1_sel:DWORD
	v_cndmask_b32_e32 v4, v3, v2, vcc
; %bb.29:                               ;   in Loop: Header=BB35_5 Depth=1
	s_or_b64 exec, exec, s[6:7]
	global_load_dword v18, v[6:7], off offset:12
	v_lshlrev_b32_e32 v20, 16, v5
                                        ; implicit-def: $vgpr17
	s_waitcnt vmcnt(0)
	v_lshlrev_b32_e32 v2, 16, v18
	v_pk_add_f32 v[2:3], v[2:3], v[20:21] op_sel_hi:[0,1]
	v_and_b32_e32 v3, 0x7f800000, v2
	v_cmp_ne_u32_e32 vcc, s17, v3
	s_and_saveexec_b64 s[6:7], vcc
	s_xor_b64 s[6:7], exec, s[6:7]
; %bb.30:                               ;   in Loop: Header=BB35_5 Depth=1
	v_bfe_u32 v3, v2, 16, 1
	v_add3_u32 v17, v2, v3, s25
                                        ; implicit-def: $vgpr2_vgpr3
; %bb.31:                               ;   in Loop: Header=BB35_5 Depth=1
	s_andn2_saveexec_b64 s[6:7], s[6:7]
; %bb.32:                               ;   in Loop: Header=BB35_5 Depth=1
	v_or_b32_e32 v3, 0x10000, v2
	v_cmp_eq_u32_sdwa vcc, v2, v10 src0_sel:WORD_0 src1_sel:DWORD
	v_cndmask_b32_e32 v17, v3, v2, vcc
; %bb.33:                               ;   in Loop: Header=BB35_5 Depth=1
	s_or_b64 exec, exec, s[6:7]
	v_and_b32_e32 v2, 0xffff0000, v18
	v_and_b32_e32 v18, 0xffff0000, v5
	v_pk_add_f32 v[2:3], v[2:3], v[18:19] op_sel_hi:[0,1]
	v_and_b32_e32 v3, 0x7f800000, v2
	v_cmp_ne_u32_e32 vcc, s17, v3
                                        ; implicit-def: $vgpr5
	s_and_saveexec_b64 s[6:7], vcc
	s_xor_b64 s[6:7], exec, s[6:7]
; %bb.34:                               ;   in Loop: Header=BB35_5 Depth=1
	v_bfe_u32 v3, v2, 16, 1
	v_add3_u32 v5, v2, v3, s25
                                        ; implicit-def: $vgpr2_vgpr3
; %bb.35:                               ;   in Loop: Header=BB35_5 Depth=1
	s_andn2_saveexec_b64 s[6:7], s[6:7]
	s_cbranch_execz .LBB35_4
; %bb.36:                               ;   in Loop: Header=BB35_5 Depth=1
	v_or_b32_e32 v3, 0x10000, v2
	v_cmp_eq_u32_sdwa vcc, v2, v10 src0_sel:WORD_0 src1_sel:DWORD
	v_cndmask_b32_e32 v5, v3, v2, vcc
	s_branch .LBB35_4
.LBB35_37:
	s_or_b64 exec, exec, s[18:19]
	v_mov_b32_e32 v10, s23
.LBB35_38:
	s_or_b64 exec, exec, s[2:3]
	v_mbcnt_lo_u32_b32 v2, -1, 0
	v_mbcnt_hi_u32_b32 v2, -1, v2
	v_and_b32_e32 v3, 63, v2
	v_cmp_ne_u32_e32 vcc, 63, v3
	v_addc_co_u32_e32 v4, vcc, 0, v2, vcc
	v_lshlrev_b32_e32 v4, 2, v4
	ds_bpermute_b32 v4, v4, v1
	v_and_b32_e32 v5, 0x3c0, v0
	v_sub_u32_e64 v5, v10, v5 clamp
	v_add_u32_e32 v6, 1, v2
	v_cmp_lt_u32_e32 vcc, v6, v5
	s_waitcnt lgkmcnt(0)
	v_add_f32_e32 v4, v1, v4
	v_cndmask_b32_e32 v1, v1, v4, vcc
	v_cmp_gt_u32_e32 vcc, 62, v3
	v_cndmask_b32_e64 v4, 0, 1, vcc
	v_lshlrev_b32_e32 v4, 1, v4
	v_add_lshl_u32 v4, v4, v2, 2
	ds_bpermute_b32 v4, v4, v1
	v_add_u32_e32 v6, 2, v2
	v_cmp_lt_u32_e32 vcc, v6, v5
	v_add_u32_e32 v6, 4, v2
	s_waitcnt lgkmcnt(0)
	v_add_f32_e32 v4, v1, v4
	v_cndmask_b32_e32 v1, v1, v4, vcc
	v_cmp_gt_u32_e32 vcc, 60, v3
	v_cndmask_b32_e64 v4, 0, 1, vcc
	v_lshlrev_b32_e32 v4, 2, v4
	v_add_lshl_u32 v4, v4, v2, 2
	ds_bpermute_b32 v4, v4, v1
	v_cmp_lt_u32_e32 vcc, v6, v5
	v_add_u32_e32 v6, 8, v2
	s_waitcnt lgkmcnt(0)
	v_add_f32_e32 v4, v1, v4
	v_cndmask_b32_e32 v1, v1, v4, vcc
	v_cmp_gt_u32_e32 vcc, 56, v3
	v_cndmask_b32_e64 v4, 0, 1, vcc
	v_lshlrev_b32_e32 v4, 3, v4
	v_add_lshl_u32 v4, v4, v2, 2
	ds_bpermute_b32 v4, v4, v1
	;; [unrolled: 10-line block ×3, first 2 shown]
	v_cmp_lt_u32_e32 vcc, v6, v5
	s_waitcnt lgkmcnt(0)
	v_add_f32_e32 v4, v1, v4
	v_cndmask_b32_e32 v1, v1, v4, vcc
	v_cmp_gt_u32_e32 vcc, 32, v3
	v_cndmask_b32_e64 v3, 0, 1, vcc
	v_lshlrev_b32_e32 v3, 5, v3
	v_add_lshl_u32 v3, v3, v2, 2
	ds_bpermute_b32 v3, v3, v1
	v_add_u32_e32 v4, 32, v2
	v_cmp_lt_u32_e32 vcc, v4, v5
	s_waitcnt lgkmcnt(0)
	v_add_f32_e32 v3, v1, v3
	v_cndmask_b32_e32 v1, v1, v3, vcc
	v_cmp_eq_u32_e32 vcc, 0, v2
	s_and_saveexec_b64 s[2:3], vcc
	s_cbranch_execz .LBB35_40
; %bb.39:
	v_lshrrev_b32_e32 v3, 4, v0
	v_and_b32_e32 v3, 60, v3
	ds_write_b32 v3, v1
.LBB35_40:
	s_or_b64 exec, exec, s[2:3]
	v_cmp_gt_u32_e32 vcc, 16, v0
	s_waitcnt lgkmcnt(0)
	s_barrier
	s_and_saveexec_b64 s[6:7], vcc
	s_cbranch_execz .LBB35_42
; %bb.41:
	v_lshlrev_b32_e32 v1, 2, v2
	ds_read_b32 v1, v1
	v_and_b32_e32 v3, 15, v2
	v_cmp_ne_u32_e32 vcc, 15, v3
	v_addc_co_u32_e32 v4, vcc, 0, v2, vcc
	v_lshlrev_b32_e32 v4, 2, v4
	s_waitcnt lgkmcnt(0)
	ds_bpermute_b32 v4, v4, v1
	v_add_u32_e32 v5, 63, v10
	v_lshrrev_b32_e32 v5, 6, v5
	v_add_u32_e32 v6, 1, v3
	v_cmp_gt_u32_e64 s[2:3], 14, v3
	v_cmp_lt_u32_e32 vcc, v6, v5
	v_cndmask_b32_e64 v6, 0, 1, s[2:3]
	s_waitcnt lgkmcnt(0)
	v_add_f32_e32 v4, v1, v4
	v_lshlrev_b32_e32 v6, 1, v6
	v_cndmask_b32_e32 v4, v1, v4, vcc
	v_add_lshl_u32 v6, v6, v2, 2
	ds_bpermute_b32 v6, v6, v4
	v_add_u32_e32 v7, 2, v3
	v_cmp_lt_u32_e64 s[2:3], v7, v5
	v_add_u32_e32 v7, 4, v3
	s_waitcnt lgkmcnt(0)
	v_add_f32_e32 v6, v4, v6
	v_cndmask_b32_e64 v4, v4, v6, s[2:3]
	v_cmp_gt_u32_e64 s[2:3], 12, v3
	v_cndmask_b32_e64 v6, 0, 1, s[2:3]
	v_lshlrev_b32_e32 v6, 2, v6
	v_add_lshl_u32 v6, v6, v2, 2
	ds_bpermute_b32 v6, v6, v4
	v_cmp_lt_u32_e64 s[2:3], v7, v5
	s_waitcnt lgkmcnt(0)
	v_add_f32_e32 v6, v4, v6
	v_cndmask_b32_e64 v4, v4, v6, s[2:3]
	v_cmp_gt_u32_e64 s[2:3], 8, v3
	v_cndmask_b32_e64 v6, 0, 1, s[2:3]
	v_lshlrev_b32_e32 v6, 3, v6
	v_add_lshl_u32 v2, v6, v2, 2
	ds_bpermute_b32 v2, v2, v4
	v_add_u32_e32 v3, 8, v3
	v_cmp_lt_u32_e64 s[2:3], v3, v5
	s_waitcnt lgkmcnt(0)
	v_add_f32_e32 v2, v4, v2
	v_cndmask_b32_e64 v2, v4, v2, s[2:3]
	v_cndmask_b32_e32 v1, v1, v2, vcc
.LBB35_42:
	s_or_b64 exec, exec, s[6:7]
	v_cmp_eq_u32_e32 vcc, 0, v0
	s_and_saveexec_b64 s[2:3], vcc
	s_cbranch_execz .LBB35_44
; %bb.43:
	v_cvt_f32_i32_e32 v2, s22
	s_load_dword s6, s[4:5], 0x30
	v_div_scale_f32 v3, s[4:5], v2, v2, v1
	v_rcp_f32_e32 v4, v3
	v_div_scale_f32 v5, vcc, v1, v2, v1
	s_mov_b32 s4, 0x800000
	v_fma_f32 v6, -v3, v4, 1.0
	v_fmac_f32_e32 v4, v6, v4
	v_mul_f32_e32 v6, v5, v4
	v_fma_f32 v7, -v3, v6, v5
	v_fmac_f32_e32 v6, v7, v4
	v_fma_f32 v3, -v3, v6, v5
	v_div_fmas_f32 v3, v3, v4, v6
	v_div_fixup_f32 v1, v3, v2, v1
	s_waitcnt lgkmcnt(0)
	v_add_f32_e32 v1, s6, v1
	v_mul_f32_e32 v2, 0x4b800000, v1
	v_cmp_gt_f32_e32 vcc, s4, v1
	v_cndmask_b32_e32 v1, v1, v2, vcc
	v_rsq_f32_e32 v1, v1
	v_mul_f32_e32 v2, 0x45800000, v1
	v_cndmask_b32_e32 v1, v1, v2, vcc
	v_mov_b32_e32 v2, 0
	ds_write_b32 v2, v1 offset:64
.LBB35_44:
	s_or_b64 exec, exec, s[2:3]
	s_waitcnt lgkmcnt(0)
	s_barrier
	s_and_saveexec_b64 s[2:3], s[0:1]
	s_cbranch_execz .LBB35_191
; %bb.45:
	s_load_dword s2, s[10:11], 0x0
	v_mov_b32_e32 v13, 0
	ds_read_b32 v22, v13 offset:64
	v_mov_b32_e32 v11, v13
	v_add_lshl_u32 v1, v0, s21, 3
	s_waitcnt lgkmcnt(0)
	v_div_scale_f32 v2, s[0:1], s2, s2, 1.0
	v_rcp_f32_e32 v3, v2
	v_div_scale_f32 v4, vcc, 1.0, s2, 1.0
	v_lshlrev_b32_e32 v24, 3, v10
	v_fma_f32 v5, -v2, v3, 1.0
	v_fmac_f32_e32 v3, v5, v3
	v_mul_f32_e32 v5, v4, v3
	v_fma_f32 v6, -v2, v5, v4
	v_fmac_f32_e32 v5, v6, v3
	v_fma_f32 v2, -v2, v5, v4
	v_div_fmas_f32 v2, v2, v3, v5
	v_div_fixup_f32 v23, v2, s2, 1.0
	v_lshlrev_b32_e32 v2, 4, v0
	v_mov_b32_e32 v3, s9
	v_add_co_u32_e32 v2, vcc, s8, v2
	v_addc_co_u32_e32 v3, vcc, 0, v3, vcc
	v_add_co_u32_e32 v14, vcc, 14, v2
	v_addc_co_u32_e32 v15, vcc, 0, v3, vcc
	v_lshlrev_b64 v[16:17], 4, v[10:11]
	s_mov_b64 s[2:3], 0
	v_mov_b32_e32 v11, s13
	s_mov_b32 s13, 0x7f800000
	s_movk_i32 s18, 0x7fff
	s_movk_i32 s19, 0x7f
	s_mov_b64 s[4:5], 0x7f800000
	s_mov_b64 s[6:7], 0x43700001
	s_movk_i32 s22, 0x78
	s_movk_i32 s23, 0x80
	v_mov_b32_e32 v25, 0x77
	v_mov_b32_e32 v26, 0xffffff8a
	s_branch .LBB35_50
.LBB35_46:                              ;   in Loop: Header=BB35_50 Depth=1
	s_or_b64 exec, exec, s[0:1]
	v_lshrrev_b64 v[2:3], 20, v[2:3]
	v_cmp_gt_i32_e32 vcc, 16, v5
	v_and_b32_sdwa v4, v4, s23 dst_sel:DWORD dst_unused:UNUSED_PAD src0_sel:BYTE_3 src1_sel:DWORD
	v_min_i32_e32 v6, 15, v5
	v_cndmask_b32_e32 v3, 0, v3, vcc
	v_cndmask_b32_e32 v2, 7, v2, vcc
	v_cmp_eq_u32_e32 vcc, 0, v5
	v_cmp_eq_u64_e64 s[0:1], 0, v[2:3]
	v_lshl_or_b32 v3, v6, 3, v4
	v_and_or_b32 v2, v2, 7, v3
	s_and_b64 s[0:1], vcc, s[0:1]
	v_cndmask_b32_e64 v2, v2, 0, s[0:1]
.LBB35_47:                              ;   in Loop: Header=BB35_50 Depth=1
	s_or_b64 exec, exec, s[16:17]
.LBB35_48:                              ;   in Loop: Header=BB35_50 Depth=1
	s_andn2_saveexec_b64 s[0:1], s[10:11]
	s_or_b64 exec, exec, s[0:1]
.LBB35_49:                              ;   in Loop: Header=BB35_50 Depth=1
	s_andn2_saveexec_b64 s[0:1], s[8:9]
	s_or_b64 exec, exec, s[0:1]
	v_add_u32_e32 v0, v0, v10
	v_cmp_le_i32_e32 vcc, s20, v0
	s_or_b64 s[2:3], vcc, s[2:3]
	v_add_co_u32_e32 v14, vcc, v14, v16
	v_add_u32_e32 v1, v1, v24
	v_addc_co_u32_e32 v15, vcc, v15, v17, vcc
	global_store_byte v[18:19], v2, off offset:7
	s_andn2_b64 exec, exec, s[2:3]
	s_cbranch_execz .LBB35_191
.LBB35_50:                              ; =>This Inner Loop Header: Depth=1
	v_add_u32_e32 v2, s21, v0
	v_ashrrev_i32_e32 v3, 31, v2
	v_lshlrev_b64 v[2:3], 4, v[2:3]
	v_add_co_u32_e32 v18, vcc, s12, v2
	v_addc_co_u32_e32 v19, vcc, v11, v3, vcc
	global_load_dwordx4 v[6:9], v[18:19], off
	global_load_dwordx4 v[2:5], v[14:15], off offset:-14
	s_waitcnt vmcnt(1)
	v_lshlrev_b32_e32 v12, 16, v6
	v_mul_f32_e32 v12, v22, v12
	v_and_b32_e32 v18, 0x7f800000, v12
	v_cmp_ne_u32_e32 vcc, s13, v18
                                        ; implicit-def: $vgpr18
	s_and_saveexec_b64 s[0:1], vcc
	s_xor_b64 s[0:1], exec, s[0:1]
; %bb.51:                               ;   in Loop: Header=BB35_50 Depth=1
	v_bfe_u32 v18, v12, 16, 1
	v_add3_u32 v18, v12, v18, s18
                                        ; implicit-def: $vgpr12
; %bb.52:                               ;   in Loop: Header=BB35_50 Depth=1
	s_andn2_saveexec_b64 s[0:1], s[0:1]
; %bb.53:                               ;   in Loop: Header=BB35_50 Depth=1
	v_or_b32_e32 v18, 0x10000, v12
	v_cmp_eq_u32_sdwa vcc, v12, v13 src0_sel:WORD_0 src1_sel:DWORD
	v_cndmask_b32_e32 v18, v18, v12, vcc
; %bb.54:                               ;   in Loop: Header=BB35_50 Depth=1
	s_or_b64 exec, exec, s[0:1]
	v_and_b32_e32 v12, 0xffff0000, v18
	s_waitcnt vmcnt(0)
	v_lshlrev_b32_e32 v18, 16, v2
	v_mul_f32_e32 v12, v12, v18
	v_and_b32_e32 v18, 0x7f800000, v12
	v_cmp_ne_u32_e32 vcc, s13, v18
                                        ; implicit-def: $vgpr18
	s_and_saveexec_b64 s[0:1], vcc
	s_xor_b64 s[0:1], exec, s[0:1]
; %bb.55:                               ;   in Loop: Header=BB35_50 Depth=1
	v_bfe_u32 v18, v12, 16, 1
	v_add3_u32 v18, v12, v18, s18
                                        ; implicit-def: $vgpr12
; %bb.56:                               ;   in Loop: Header=BB35_50 Depth=1
	s_andn2_saveexec_b64 s[0:1], s[0:1]
; %bb.57:                               ;   in Loop: Header=BB35_50 Depth=1
	v_or_b32_e32 v18, 0x10000, v12
	v_cmp_eq_u32_sdwa vcc, v12, v13 src0_sel:WORD_0 src1_sel:DWORD
	v_cndmask_b32_e32 v18, v18, v12, vcc
; %bb.58:                               ;   in Loop: Header=BB35_50 Depth=1
	s_or_b64 exec, exec, s[0:1]
	v_and_b32_e32 v12, 0xffff0000, v18
	v_mul_f32_e32 v12, v23, v12
	v_min_f32_e32 v12, 0x43600000, v12
	v_max_f32_e32 v20, 0xc3600000, v12
	v_and_b32_e32 v12, 0x7f800000, v20
	v_or_b32_sdwa v21, v20, s19 dst_sel:DWORD dst_unused:UNUSED_PAD src0_sel:BYTE_3 src1_sel:DWORD
	v_cmp_ne_u64_e32 vcc, s[4:5], v[12:13]
	s_and_saveexec_b64 s[0:1], vcc
	s_xor_b64 s[8:9], exec, s[0:1]
	s_cbranch_execz .LBB35_68
; %bb.59:                               ;   in Loop: Header=BB35_50 Depth=1
	v_and_b32_e32 v12, 0x7fffffff, v20
	v_cmp_gt_u64_e32 vcc, s[6:7], v[12:13]
	s_and_saveexec_b64 s[0:1], vcc
	s_xor_b64 s[10:11], exec, s[0:1]
	s_cbranch_execz .LBB35_67
; %bb.60:                               ;   in Loop: Header=BB35_50 Depth=1
	v_cmp_ne_u32_e32 vcc, 0, v20
	v_mov_b32_e32 v21, 0
	s_and_saveexec_b64 s[16:17], vcc
	s_cbranch_execz .LBB35_66
; %bb.61:                               ;   in Loop: Header=BB35_50 Depth=1
	v_bfe_u32 v18, v20, 23, 8
	v_sub_u32_e64 v19, s22, v18 clamp
	v_cmp_eq_u32_e32 vcc, 0, v18
	v_cndmask_b32_e32 v30, v19, v25, vcc
	v_and_b32_e32 v12, 0x7fffff, v20
	v_add_u32_e32 v27, 0xffffff89, v18
	v_add_u32_e32 v18, 20, v30
	v_or_b32_e32 v21, 0x800000, v12
	v_lshlrev_b64 v[18:19], v18, -1
	v_cndmask_b32_e32 v12, v21, v12, vcc
	v_not_b32_e32 v18, v18
	v_add_u32_e32 v21, 19, v30
	v_and_b32_e32 v18, v12, v18
	v_mov_b32_e32 v19, v13
	v_lshlrev_b64 v[28:29], v21, 1
	v_cmp_eq_u64_e64 s[0:1], v[18:19], v[28:29]
	v_lshrrev_b64 v[18:19], v30, v[12:13]
	v_cndmask_b32_e32 v12, v27, v26, vcc
	v_lshrrev_b32_e32 v21, 23, v18
	v_add3_u32 v21, v12, v30, v21
	v_and_b32_e32 v12, 0x100000, v18
	v_cmp_eq_u64_e32 vcc, 0, v[12:13]
	s_and_b64 vcc, vcc, s[0:1]
	v_subbrev_co_u32_e32 v12, vcc, 0, v18, vcc
	v_and_b32_e32 v12, 0xfffff, v12
	v_add_co_u32_e32 v18, vcc, v12, v18
	v_add_u32_e32 v27, -1, v21
	v_addc_co_u32_e32 v19, vcc, 0, v19, vcc
	v_cmp_ne_u32_e32 vcc, 0, v27
                                        ; implicit-def: $vgpr12
	s_and_saveexec_b64 s[0:1], vcc
	s_xor_b64 s[0:1], exec, s[0:1]
; %bb.62:                               ;   in Loop: Header=BB35_50 Depth=1
	v_and_b32_e32 v12, 0x1000000, v18
	v_cmp_eq_u64_e32 vcc, 0, v[12:13]
	v_cndmask_b32_e32 v12, v21, v27, vcc
	v_bfe_u32 v21, v18, 24, 1
	v_lshrrev_b64 v[18:19], v21, v[18:19]
; %bb.63:                               ;   in Loop: Header=BB35_50 Depth=1
	s_andn2_saveexec_b64 s[0:1], s[0:1]
; %bb.64:                               ;   in Loop: Header=BB35_50 Depth=1
	v_bfe_u32 v12, v18, 23, 1
; %bb.65:                               ;   in Loop: Header=BB35_50 Depth=1
	s_or_b64 exec, exec, s[0:1]
	v_lshrrev_b64 v[18:19], 20, v[18:19]
	v_cmp_gt_i32_e32 vcc, 16, v12
	v_and_b32_sdwa v20, v20, s23 dst_sel:DWORD dst_unused:UNUSED_PAD src0_sel:BYTE_3 src1_sel:DWORD
	v_min_i32_e32 v21, 15, v12
	v_cndmask_b32_e32 v19, 0, v19, vcc
	v_cndmask_b32_e32 v18, 7, v18, vcc
	v_cmp_eq_u32_e32 vcc, 0, v12
	v_cmp_eq_u64_e64 s[0:1], 0, v[18:19]
	v_lshl_or_b32 v12, v21, 3, v20
	v_and_or_b32 v12, v18, 7, v12
	s_and_b64 s[0:1], vcc, s[0:1]
	v_cndmask_b32_e64 v21, v12, 0, s[0:1]
.LBB35_66:                              ;   in Loop: Header=BB35_50 Depth=1
	s_or_b64 exec, exec, s[16:17]
.LBB35_67:                              ;   in Loop: Header=BB35_50 Depth=1
	s_andn2_saveexec_b64 s[0:1], s[10:11]
	s_or_b64 exec, exec, s[0:1]
.LBB35_68:                              ;   in Loop: Header=BB35_50 Depth=1
	s_andn2_saveexec_b64 s[0:1], s[8:9]
	s_or_b64 exec, exec, s[0:1]
	v_and_b32_e32 v6, 0xffff0000, v6
	v_ashrrev_i32_e32 v12, 31, v1
	v_mov_b32_e32 v19, s15
	v_add_co_u32_e32 v18, vcc, s14, v1
	v_mul_f32_e32 v6, v22, v6
	v_addc_co_u32_e32 v19, vcc, v19, v12, vcc
	v_and_b32_e32 v12, 0x7f800000, v6
	v_cmp_ne_u32_e32 vcc, s13, v12
	global_store_byte v[18:19], v21, off
                                        ; implicit-def: $vgpr12
	s_and_saveexec_b64 s[0:1], vcc
	s_xor_b64 s[0:1], exec, s[0:1]
; %bb.69:                               ;   in Loop: Header=BB35_50 Depth=1
	v_bfe_u32 v12, v6, 16, 1
	v_add3_u32 v12, v6, v12, s18
                                        ; implicit-def: $vgpr6
; %bb.70:                               ;   in Loop: Header=BB35_50 Depth=1
	s_andn2_saveexec_b64 s[0:1], s[0:1]
; %bb.71:                               ;   in Loop: Header=BB35_50 Depth=1
	v_or_b32_e32 v12, 0x10000, v6
	v_cmp_eq_u32_sdwa vcc, v6, v13 src0_sel:WORD_0 src1_sel:DWORD
	v_cndmask_b32_e32 v12, v12, v6, vcc
; %bb.72:                               ;   in Loop: Header=BB35_50 Depth=1
	s_or_b64 exec, exec, s[0:1]
	v_and_b32_e32 v6, 0xffff0000, v12
	v_and_b32_e32 v2, 0xffff0000, v2
	v_mul_f32_e32 v2, v6, v2
	v_and_b32_e32 v6, 0x7f800000, v2
	v_cmp_ne_u32_e32 vcc, s13, v6
                                        ; implicit-def: $vgpr6
	s_and_saveexec_b64 s[0:1], vcc
	s_xor_b64 s[0:1], exec, s[0:1]
; %bb.73:                               ;   in Loop: Header=BB35_50 Depth=1
	v_bfe_u32 v6, v2, 16, 1
	v_add3_u32 v6, v2, v6, s18
                                        ; implicit-def: $vgpr2
; %bb.74:                               ;   in Loop: Header=BB35_50 Depth=1
	s_andn2_saveexec_b64 s[0:1], s[0:1]
; %bb.75:                               ;   in Loop: Header=BB35_50 Depth=1
	v_or_b32_e32 v6, 0x10000, v2
	v_cmp_eq_u32_sdwa vcc, v2, v13 src0_sel:WORD_0 src1_sel:DWORD
	v_cndmask_b32_e32 v6, v6, v2, vcc
; %bb.76:                               ;   in Loop: Header=BB35_50 Depth=1
	s_or_b64 exec, exec, s[0:1]
	v_and_b32_e32 v2, 0xffff0000, v6
	v_mul_f32_e32 v2, v23, v2
	v_min_f32_e32 v2, 0x43600000, v2
	v_max_f32_e32 v2, 0xc3600000, v2
	v_and_b32_e32 v12, 0x7f800000, v2
	v_or_b32_sdwa v6, v2, s19 dst_sel:DWORD dst_unused:UNUSED_PAD src0_sel:BYTE_3 src1_sel:DWORD
	v_cmp_ne_u64_e32 vcc, s[4:5], v[12:13]
	s_and_saveexec_b64 s[0:1], vcc
	s_xor_b64 s[8:9], exec, s[0:1]
	s_cbranch_execz .LBB35_86
; %bb.77:                               ;   in Loop: Header=BB35_50 Depth=1
	v_and_b32_e32 v12, 0x7fffffff, v2
	v_cmp_gt_u64_e32 vcc, s[6:7], v[12:13]
	s_and_saveexec_b64 s[0:1], vcc
	s_xor_b64 s[10:11], exec, s[0:1]
	s_cbranch_execz .LBB35_85
; %bb.78:                               ;   in Loop: Header=BB35_50 Depth=1
	v_cmp_ne_u32_e32 vcc, 0, v2
	v_mov_b32_e32 v6, 0
	s_and_saveexec_b64 s[16:17], vcc
	s_cbranch_execz .LBB35_84
; %bb.79:                               ;   in Loop: Header=BB35_50 Depth=1
	v_bfe_u32 v12, v2, 23, 8
	v_and_b32_e32 v6, 0x7fffff, v2
	v_sub_u32_e64 v20, s22, v12 clamp
	v_cmp_eq_u32_e32 vcc, 0, v12
	v_or_b32_e32 v21, 0x800000, v6
	v_cndmask_b32_e32 v30, v20, v25, vcc
	v_add_u32_e32 v27, 0xffffff89, v12
	v_cndmask_b32_e32 v12, v21, v6, vcc
	v_add_u32_e32 v6, 20, v30
	v_lshlrev_b64 v[20:21], v6, -1
	v_not_b32_e32 v6, v20
	v_and_b32_e32 v20, v12, v6
	v_add_u32_e32 v6, 19, v30
	v_mov_b32_e32 v21, v13
	v_lshlrev_b64 v[28:29], v6, 1
	v_cmp_eq_u64_e64 s[0:1], v[20:21], v[28:29]
	v_lshrrev_b64 v[20:21], v30, v[12:13]
	v_cndmask_b32_e32 v6, v27, v26, vcc
	v_lshrrev_b32_e32 v12, 23, v20
	v_add3_u32 v27, v6, v30, v12
	v_and_b32_e32 v12, 0x100000, v20
	v_cmp_eq_u64_e32 vcc, 0, v[12:13]
	s_and_b64 vcc, vcc, s[0:1]
	v_subbrev_co_u32_e32 v6, vcc, 0, v20, vcc
	v_and_b32_e32 v6, 0xfffff, v6
	v_add_co_u32_e32 v20, vcc, v6, v20
	v_add_u32_e32 v28, -1, v27
	v_addc_co_u32_e32 v21, vcc, 0, v21, vcc
	v_cmp_ne_u32_e32 vcc, 0, v28
                                        ; implicit-def: $vgpr6
	s_and_saveexec_b64 s[0:1], vcc
	s_xor_b64 s[0:1], exec, s[0:1]
; %bb.80:                               ;   in Loop: Header=BB35_50 Depth=1
	v_and_b32_e32 v12, 0x1000000, v20
	v_cmp_eq_u64_e32 vcc, 0, v[12:13]
	v_bfe_u32 v12, v20, 24, 1
	v_cndmask_b32_e32 v6, v27, v28, vcc
	v_lshrrev_b64 v[20:21], v12, v[20:21]
; %bb.81:                               ;   in Loop: Header=BB35_50 Depth=1
	s_andn2_saveexec_b64 s[0:1], s[0:1]
; %bb.82:                               ;   in Loop: Header=BB35_50 Depth=1
	v_bfe_u32 v6, v20, 23, 1
; %bb.83:                               ;   in Loop: Header=BB35_50 Depth=1
	s_or_b64 exec, exec, s[0:1]
	v_lshrrev_b64 v[20:21], 20, v[20:21]
	v_cmp_gt_i32_e32 vcc, 16, v6
	v_and_b32_sdwa v2, v2, s23 dst_sel:DWORD dst_unused:UNUSED_PAD src0_sel:BYTE_3 src1_sel:DWORD
	v_min_i32_e32 v12, 15, v6
	v_cndmask_b32_e32 v21, 0, v21, vcc
	v_cndmask_b32_e32 v20, 7, v20, vcc
	v_cmp_eq_u32_e32 vcc, 0, v6
	v_cmp_eq_u64_e64 s[0:1], 0, v[20:21]
	v_lshl_or_b32 v2, v12, 3, v2
	v_and_or_b32 v2, v20, 7, v2
	s_and_b64 s[0:1], vcc, s[0:1]
	v_cndmask_b32_e64 v6, v2, 0, s[0:1]
.LBB35_84:                              ;   in Loop: Header=BB35_50 Depth=1
	s_or_b64 exec, exec, s[16:17]
.LBB35_85:                              ;   in Loop: Header=BB35_50 Depth=1
	s_andn2_saveexec_b64 s[0:1], s[10:11]
	s_or_b64 exec, exec, s[0:1]
.LBB35_86:                              ;   in Loop: Header=BB35_50 Depth=1
	s_andn2_saveexec_b64 s[0:1], s[8:9]
	s_or_b64 exec, exec, s[0:1]
	v_lshlrev_b32_e32 v2, 16, v7
	v_mul_f32_e32 v2, v22, v2
	global_store_byte v[18:19], v6, off offset:1
	v_and_b32_e32 v6, 0x7f800000, v2
	v_cmp_ne_u32_e32 vcc, s13, v6
                                        ; implicit-def: $vgpr6
	s_and_saveexec_b64 s[0:1], vcc
	s_xor_b64 s[0:1], exec, s[0:1]
; %bb.87:                               ;   in Loop: Header=BB35_50 Depth=1
	v_bfe_u32 v6, v2, 16, 1
	v_add3_u32 v6, v2, v6, s18
                                        ; implicit-def: $vgpr2
; %bb.88:                               ;   in Loop: Header=BB35_50 Depth=1
	s_andn2_saveexec_b64 s[0:1], s[0:1]
; %bb.89:                               ;   in Loop: Header=BB35_50 Depth=1
	v_or_b32_e32 v6, 0x10000, v2
	v_cmp_eq_u32_sdwa vcc, v2, v13 src0_sel:WORD_0 src1_sel:DWORD
	v_cndmask_b32_e32 v6, v6, v2, vcc
; %bb.90:                               ;   in Loop: Header=BB35_50 Depth=1
	s_or_b64 exec, exec, s[0:1]
	v_and_b32_e32 v2, 0xffff0000, v6
	v_lshlrev_b32_e32 v6, 16, v3
	v_mul_f32_e32 v2, v2, v6
	v_and_b32_e32 v6, 0x7f800000, v2
	v_cmp_ne_u32_e32 vcc, s13, v6
                                        ; implicit-def: $vgpr6
	s_and_saveexec_b64 s[0:1], vcc
	s_xor_b64 s[0:1], exec, s[0:1]
; %bb.91:                               ;   in Loop: Header=BB35_50 Depth=1
	v_bfe_u32 v6, v2, 16, 1
	v_add3_u32 v6, v2, v6, s18
                                        ; implicit-def: $vgpr2
; %bb.92:                               ;   in Loop: Header=BB35_50 Depth=1
	s_andn2_saveexec_b64 s[0:1], s[0:1]
; %bb.93:                               ;   in Loop: Header=BB35_50 Depth=1
	v_or_b32_e32 v6, 0x10000, v2
	v_cmp_eq_u32_sdwa vcc, v2, v13 src0_sel:WORD_0 src1_sel:DWORD
	v_cndmask_b32_e32 v6, v6, v2, vcc
; %bb.94:                               ;   in Loop: Header=BB35_50 Depth=1
	s_or_b64 exec, exec, s[0:1]
	v_and_b32_e32 v2, 0xffff0000, v6
	v_mul_f32_e32 v2, v23, v2
	v_min_f32_e32 v2, 0x43600000, v2
	v_max_f32_e32 v2, 0xc3600000, v2
	v_and_b32_e32 v12, 0x7f800000, v2
	v_or_b32_sdwa v6, v2, s19 dst_sel:DWORD dst_unused:UNUSED_PAD src0_sel:BYTE_3 src1_sel:DWORD
	v_cmp_ne_u64_e32 vcc, s[4:5], v[12:13]
	s_and_saveexec_b64 s[0:1], vcc
	s_xor_b64 s[8:9], exec, s[0:1]
	s_cbranch_execz .LBB35_104
; %bb.95:                               ;   in Loop: Header=BB35_50 Depth=1
	v_and_b32_e32 v12, 0x7fffffff, v2
	v_cmp_gt_u64_e32 vcc, s[6:7], v[12:13]
	s_and_saveexec_b64 s[0:1], vcc
	s_xor_b64 s[10:11], exec, s[0:1]
	s_cbranch_execz .LBB35_103
; %bb.96:                               ;   in Loop: Header=BB35_50 Depth=1
	v_cmp_ne_u32_e32 vcc, 0, v2
	v_mov_b32_e32 v6, 0
	s_and_saveexec_b64 s[16:17], vcc
	s_cbranch_execz .LBB35_102
; %bb.97:                               ;   in Loop: Header=BB35_50 Depth=1
	v_bfe_u32 v12, v2, 23, 8
	v_and_b32_e32 v6, 0x7fffff, v2
	v_sub_u32_e64 v20, s22, v12 clamp
	v_cmp_eq_u32_e32 vcc, 0, v12
	v_or_b32_e32 v21, 0x800000, v6
	v_cndmask_b32_e32 v30, v20, v25, vcc
	v_add_u32_e32 v27, 0xffffff89, v12
	v_cndmask_b32_e32 v12, v21, v6, vcc
	v_add_u32_e32 v6, 20, v30
	v_lshlrev_b64 v[20:21], v6, -1
	v_not_b32_e32 v6, v20
	v_and_b32_e32 v20, v12, v6
	v_add_u32_e32 v6, 19, v30
	v_mov_b32_e32 v21, v13
	v_lshlrev_b64 v[28:29], v6, 1
	v_cmp_eq_u64_e64 s[0:1], v[20:21], v[28:29]
	v_lshrrev_b64 v[20:21], v30, v[12:13]
	v_cndmask_b32_e32 v6, v27, v26, vcc
	v_lshrrev_b32_e32 v12, 23, v20
	v_add3_u32 v27, v6, v30, v12
	v_and_b32_e32 v12, 0x100000, v20
	v_cmp_eq_u64_e32 vcc, 0, v[12:13]
	s_and_b64 vcc, vcc, s[0:1]
	v_subbrev_co_u32_e32 v6, vcc, 0, v20, vcc
	v_and_b32_e32 v6, 0xfffff, v6
	v_add_co_u32_e32 v20, vcc, v6, v20
	v_add_u32_e32 v28, -1, v27
	v_addc_co_u32_e32 v21, vcc, 0, v21, vcc
	v_cmp_ne_u32_e32 vcc, 0, v28
                                        ; implicit-def: $vgpr6
	s_and_saveexec_b64 s[0:1], vcc
	s_xor_b64 s[0:1], exec, s[0:1]
; %bb.98:                               ;   in Loop: Header=BB35_50 Depth=1
	v_and_b32_e32 v12, 0x1000000, v20
	v_cmp_eq_u64_e32 vcc, 0, v[12:13]
	v_bfe_u32 v12, v20, 24, 1
	v_cndmask_b32_e32 v6, v27, v28, vcc
	v_lshrrev_b64 v[20:21], v12, v[20:21]
; %bb.99:                               ;   in Loop: Header=BB35_50 Depth=1
	s_andn2_saveexec_b64 s[0:1], s[0:1]
; %bb.100:                              ;   in Loop: Header=BB35_50 Depth=1
	v_bfe_u32 v6, v20, 23, 1
; %bb.101:                              ;   in Loop: Header=BB35_50 Depth=1
	s_or_b64 exec, exec, s[0:1]
	v_lshrrev_b64 v[20:21], 20, v[20:21]
	v_cmp_gt_i32_e32 vcc, 16, v6
	v_and_b32_sdwa v2, v2, s23 dst_sel:DWORD dst_unused:UNUSED_PAD src0_sel:BYTE_3 src1_sel:DWORD
	v_min_i32_e32 v12, 15, v6
	v_cndmask_b32_e32 v21, 0, v21, vcc
	v_cndmask_b32_e32 v20, 7, v20, vcc
	v_cmp_eq_u32_e32 vcc, 0, v6
	v_cmp_eq_u64_e64 s[0:1], 0, v[20:21]
	v_lshl_or_b32 v2, v12, 3, v2
	v_and_or_b32 v2, v20, 7, v2
	s_and_b64 s[0:1], vcc, s[0:1]
	v_cndmask_b32_e64 v6, v2, 0, s[0:1]
.LBB35_102:                             ;   in Loop: Header=BB35_50 Depth=1
	s_or_b64 exec, exec, s[16:17]
.LBB35_103:                             ;   in Loop: Header=BB35_50 Depth=1
	s_andn2_saveexec_b64 s[0:1], s[10:11]
	s_or_b64 exec, exec, s[0:1]
.LBB35_104:                             ;   in Loop: Header=BB35_50 Depth=1
	s_andn2_saveexec_b64 s[0:1], s[8:9]
	s_or_b64 exec, exec, s[0:1]
	v_and_b32_e32 v2, 0xffff0000, v7
	v_mul_f32_e32 v2, v22, v2
	global_store_byte v[18:19], v6, off offset:2
	v_and_b32_e32 v6, 0x7f800000, v2
	v_cmp_ne_u32_e32 vcc, s13, v6
                                        ; implicit-def: $vgpr6
	s_and_saveexec_b64 s[0:1], vcc
	s_xor_b64 s[0:1], exec, s[0:1]
; %bb.105:                              ;   in Loop: Header=BB35_50 Depth=1
	v_bfe_u32 v6, v2, 16, 1
	v_add3_u32 v6, v2, v6, s18
                                        ; implicit-def: $vgpr2
; %bb.106:                              ;   in Loop: Header=BB35_50 Depth=1
	s_andn2_saveexec_b64 s[0:1], s[0:1]
; %bb.107:                              ;   in Loop: Header=BB35_50 Depth=1
	v_or_b32_e32 v6, 0x10000, v2
	v_cmp_eq_u32_sdwa vcc, v2, v13 src0_sel:WORD_0 src1_sel:DWORD
	v_cndmask_b32_e32 v6, v6, v2, vcc
; %bb.108:                              ;   in Loop: Header=BB35_50 Depth=1
	s_or_b64 exec, exec, s[0:1]
	v_and_b32_e32 v2, 0xffff0000, v6
	v_and_b32_e32 v3, 0xffff0000, v3
	v_mul_f32_e32 v2, v2, v3
	v_and_b32_e32 v3, 0x7f800000, v2
	v_cmp_ne_u32_e32 vcc, s13, v3
                                        ; implicit-def: $vgpr3
	s_and_saveexec_b64 s[0:1], vcc
	s_xor_b64 s[0:1], exec, s[0:1]
; %bb.109:                              ;   in Loop: Header=BB35_50 Depth=1
	v_bfe_u32 v3, v2, 16, 1
	v_add3_u32 v3, v2, v3, s18
                                        ; implicit-def: $vgpr2
; %bb.110:                              ;   in Loop: Header=BB35_50 Depth=1
	s_andn2_saveexec_b64 s[0:1], s[0:1]
; %bb.111:                              ;   in Loop: Header=BB35_50 Depth=1
	v_or_b32_e32 v3, 0x10000, v2
	v_cmp_eq_u32_sdwa vcc, v2, v13 src0_sel:WORD_0 src1_sel:DWORD
	v_cndmask_b32_e32 v3, v3, v2, vcc
; %bb.112:                              ;   in Loop: Header=BB35_50 Depth=1
	s_or_b64 exec, exec, s[0:1]
	v_and_b32_e32 v2, 0xffff0000, v3
	v_mul_f32_e32 v2, v23, v2
	v_min_f32_e32 v2, 0x43600000, v2
	v_max_f32_e32 v6, 0xc3600000, v2
	v_and_b32_e32 v12, 0x7f800000, v6
	v_or_b32_sdwa v2, v6, s19 dst_sel:DWORD dst_unused:UNUSED_PAD src0_sel:BYTE_3 src1_sel:DWORD
	v_cmp_ne_u64_e32 vcc, s[4:5], v[12:13]
	s_and_saveexec_b64 s[0:1], vcc
	s_xor_b64 s[8:9], exec, s[0:1]
	s_cbranch_execz .LBB35_122
; %bb.113:                              ;   in Loop: Header=BB35_50 Depth=1
	v_and_b32_e32 v12, 0x7fffffff, v6
	v_cmp_gt_u64_e32 vcc, s[6:7], v[12:13]
	s_and_saveexec_b64 s[0:1], vcc
	s_xor_b64 s[10:11], exec, s[0:1]
	s_cbranch_execz .LBB35_121
; %bb.114:                              ;   in Loop: Header=BB35_50 Depth=1
	v_cmp_ne_u32_e32 vcc, 0, v6
	v_mov_b32_e32 v2, 0
	s_and_saveexec_b64 s[16:17], vcc
	s_cbranch_execz .LBB35_120
; %bb.115:                              ;   in Loop: Header=BB35_50 Depth=1
	v_bfe_u32 v3, v6, 23, 8
	v_and_b32_e32 v2, 0x7fffff, v6
	v_sub_u32_e64 v7, s22, v3 clamp
	v_cmp_eq_u32_e32 vcc, 0, v3
	v_or_b32_e32 v12, 0x800000, v2
	v_cndmask_b32_e32 v7, v7, v25, vcc
	v_cndmask_b32_e32 v12, v12, v2, vcc
	v_add_u32_e32 v2, 20, v7
	v_add_u32_e32 v27, 0xffffff89, v3
	v_lshlrev_b64 v[2:3], v2, -1
	v_not_b32_e32 v2, v2
	v_add_u32_e32 v20, 19, v7
	v_and_b32_e32 v2, v12, v2
	v_mov_b32_e32 v3, v13
	v_lshlrev_b64 v[20:21], v20, 1
	v_cmp_eq_u64_e64 s[0:1], v[2:3], v[20:21]
	v_lshrrev_b64 v[2:3], v7, v[12:13]
	v_cndmask_b32_e32 v12, v27, v26, vcc
	v_lshrrev_b32_e32 v20, 23, v2
	v_add3_u32 v20, v12, v7, v20
	v_and_b32_e32 v12, 0x100000, v2
	v_cmp_eq_u64_e32 vcc, 0, v[12:13]
	s_and_b64 vcc, vcc, s[0:1]
	v_subbrev_co_u32_e32 v7, vcc, 0, v2, vcc
	v_and_b32_e32 v7, 0xfffff, v7
	v_add_co_u32_e32 v2, vcc, v7, v2
	v_add_u32_e32 v21, -1, v20
	v_addc_co_u32_e32 v3, vcc, 0, v3, vcc
	v_cmp_ne_u32_e32 vcc, 0, v21
                                        ; implicit-def: $vgpr7
	s_and_saveexec_b64 s[0:1], vcc
	s_xor_b64 s[0:1], exec, s[0:1]
; %bb.116:                              ;   in Loop: Header=BB35_50 Depth=1
	v_and_b32_e32 v12, 0x1000000, v2
	v_cmp_eq_u64_e32 vcc, 0, v[12:13]
	v_bfe_u32 v12, v2, 24, 1
	v_cndmask_b32_e32 v7, v20, v21, vcc
	v_lshrrev_b64 v[2:3], v12, v[2:3]
; %bb.117:                              ;   in Loop: Header=BB35_50 Depth=1
	s_andn2_saveexec_b64 s[0:1], s[0:1]
; %bb.118:                              ;   in Loop: Header=BB35_50 Depth=1
	v_bfe_u32 v7, v2, 23, 1
; %bb.119:                              ;   in Loop: Header=BB35_50 Depth=1
	s_or_b64 exec, exec, s[0:1]
	v_lshrrev_b64 v[2:3], 20, v[2:3]
	v_cmp_gt_i32_e32 vcc, 16, v7
	v_and_b32_sdwa v6, v6, s23 dst_sel:DWORD dst_unused:UNUSED_PAD src0_sel:BYTE_3 src1_sel:DWORD
	v_min_i32_e32 v12, 15, v7
	v_cndmask_b32_e32 v3, 0, v3, vcc
	v_cndmask_b32_e32 v2, 7, v2, vcc
	v_cmp_eq_u32_e32 vcc, 0, v7
	v_cmp_eq_u64_e64 s[0:1], 0, v[2:3]
	v_lshl_or_b32 v3, v12, 3, v6
	v_and_or_b32 v2, v2, 7, v3
	s_and_b64 s[0:1], vcc, s[0:1]
	v_cndmask_b32_e64 v2, v2, 0, s[0:1]
.LBB35_120:                             ;   in Loop: Header=BB35_50 Depth=1
	s_or_b64 exec, exec, s[16:17]
.LBB35_121:                             ;   in Loop: Header=BB35_50 Depth=1
	s_andn2_saveexec_b64 s[0:1], s[10:11]
	s_or_b64 exec, exec, s[0:1]
.LBB35_122:                             ;   in Loop: Header=BB35_50 Depth=1
	s_andn2_saveexec_b64 s[0:1], s[8:9]
	s_or_b64 exec, exec, s[0:1]
	global_store_byte v[18:19], v2, off offset:3
	v_lshlrev_b32_e32 v2, 16, v8
	v_mul_f32_e32 v2, v22, v2
	v_and_b32_e32 v3, 0x7f800000, v2
	v_cmp_ne_u32_e32 vcc, s13, v3
                                        ; implicit-def: $vgpr3
	s_and_saveexec_b64 s[0:1], vcc
	s_xor_b64 s[0:1], exec, s[0:1]
; %bb.123:                              ;   in Loop: Header=BB35_50 Depth=1
	v_bfe_u32 v3, v2, 16, 1
	v_add3_u32 v3, v2, v3, s18
                                        ; implicit-def: $vgpr2
; %bb.124:                              ;   in Loop: Header=BB35_50 Depth=1
	s_andn2_saveexec_b64 s[0:1], s[0:1]
; %bb.125:                              ;   in Loop: Header=BB35_50 Depth=1
	v_or_b32_e32 v3, 0x10000, v2
	v_cmp_eq_u32_sdwa vcc, v2, v13 src0_sel:WORD_0 src1_sel:DWORD
	v_cndmask_b32_e32 v3, v3, v2, vcc
; %bb.126:                              ;   in Loop: Header=BB35_50 Depth=1
	s_or_b64 exec, exec, s[0:1]
	v_and_b32_e32 v2, 0xffff0000, v3
	v_lshlrev_b32_e32 v3, 16, v4
	v_mul_f32_e32 v2, v2, v3
	v_and_b32_e32 v3, 0x7f800000, v2
	v_cmp_ne_u32_e32 vcc, s13, v3
                                        ; implicit-def: $vgpr3
	s_and_saveexec_b64 s[0:1], vcc
	s_xor_b64 s[0:1], exec, s[0:1]
; %bb.127:                              ;   in Loop: Header=BB35_50 Depth=1
	v_bfe_u32 v3, v2, 16, 1
	v_add3_u32 v3, v2, v3, s18
                                        ; implicit-def: $vgpr2
; %bb.128:                              ;   in Loop: Header=BB35_50 Depth=1
	s_andn2_saveexec_b64 s[0:1], s[0:1]
; %bb.129:                              ;   in Loop: Header=BB35_50 Depth=1
	v_or_b32_e32 v3, 0x10000, v2
	v_cmp_eq_u32_sdwa vcc, v2, v13 src0_sel:WORD_0 src1_sel:DWORD
	v_cndmask_b32_e32 v3, v3, v2, vcc
; %bb.130:                              ;   in Loop: Header=BB35_50 Depth=1
	s_or_b64 exec, exec, s[0:1]
	v_and_b32_e32 v2, 0xffff0000, v3
	v_mul_f32_e32 v2, v23, v2
	v_min_f32_e32 v2, 0x43600000, v2
	v_max_f32_e32 v6, 0xc3600000, v2
	v_and_b32_e32 v12, 0x7f800000, v6
	v_or_b32_sdwa v2, v6, s19 dst_sel:DWORD dst_unused:UNUSED_PAD src0_sel:BYTE_3 src1_sel:DWORD
	v_cmp_ne_u64_e32 vcc, s[4:5], v[12:13]
	s_and_saveexec_b64 s[0:1], vcc
	s_xor_b64 s[8:9], exec, s[0:1]
	s_cbranch_execz .LBB35_140
; %bb.131:                              ;   in Loop: Header=BB35_50 Depth=1
	v_and_b32_e32 v12, 0x7fffffff, v6
	v_cmp_gt_u64_e32 vcc, s[6:7], v[12:13]
	s_and_saveexec_b64 s[0:1], vcc
	s_xor_b64 s[10:11], exec, s[0:1]
	s_cbranch_execz .LBB35_139
; %bb.132:                              ;   in Loop: Header=BB35_50 Depth=1
	v_cmp_ne_u32_e32 vcc, 0, v6
	v_mov_b32_e32 v2, 0
	s_and_saveexec_b64 s[16:17], vcc
	s_cbranch_execz .LBB35_138
; %bb.133:                              ;   in Loop: Header=BB35_50 Depth=1
	v_bfe_u32 v3, v6, 23, 8
	v_and_b32_e32 v2, 0x7fffff, v6
	v_sub_u32_e64 v7, s22, v3 clamp
	v_cmp_eq_u32_e32 vcc, 0, v3
	v_or_b32_e32 v12, 0x800000, v2
	v_cndmask_b32_e32 v7, v7, v25, vcc
	v_cndmask_b32_e32 v12, v12, v2, vcc
	v_add_u32_e32 v2, 20, v7
	v_add_u32_e32 v27, 0xffffff89, v3
	v_lshlrev_b64 v[2:3], v2, -1
	v_not_b32_e32 v2, v2
	v_add_u32_e32 v20, 19, v7
	v_and_b32_e32 v2, v12, v2
	v_mov_b32_e32 v3, v13
	v_lshlrev_b64 v[20:21], v20, 1
	v_cmp_eq_u64_e64 s[0:1], v[2:3], v[20:21]
	v_lshrrev_b64 v[2:3], v7, v[12:13]
	v_cndmask_b32_e32 v12, v27, v26, vcc
	v_lshrrev_b32_e32 v20, 23, v2
	v_add3_u32 v20, v12, v7, v20
	v_and_b32_e32 v12, 0x100000, v2
	v_cmp_eq_u64_e32 vcc, 0, v[12:13]
	s_and_b64 vcc, vcc, s[0:1]
	v_subbrev_co_u32_e32 v7, vcc, 0, v2, vcc
	v_and_b32_e32 v7, 0xfffff, v7
	v_add_co_u32_e32 v2, vcc, v7, v2
	v_add_u32_e32 v21, -1, v20
	v_addc_co_u32_e32 v3, vcc, 0, v3, vcc
	v_cmp_ne_u32_e32 vcc, 0, v21
                                        ; implicit-def: $vgpr7
	s_and_saveexec_b64 s[0:1], vcc
	s_xor_b64 s[0:1], exec, s[0:1]
; %bb.134:                              ;   in Loop: Header=BB35_50 Depth=1
	v_and_b32_e32 v12, 0x1000000, v2
	v_cmp_eq_u64_e32 vcc, 0, v[12:13]
	v_bfe_u32 v12, v2, 24, 1
	v_cndmask_b32_e32 v7, v20, v21, vcc
	v_lshrrev_b64 v[2:3], v12, v[2:3]
; %bb.135:                              ;   in Loop: Header=BB35_50 Depth=1
	s_andn2_saveexec_b64 s[0:1], s[0:1]
; %bb.136:                              ;   in Loop: Header=BB35_50 Depth=1
	v_bfe_u32 v7, v2, 23, 1
; %bb.137:                              ;   in Loop: Header=BB35_50 Depth=1
	s_or_b64 exec, exec, s[0:1]
	v_lshrrev_b64 v[2:3], 20, v[2:3]
	v_cmp_gt_i32_e32 vcc, 16, v7
	v_and_b32_sdwa v6, v6, s23 dst_sel:DWORD dst_unused:UNUSED_PAD src0_sel:BYTE_3 src1_sel:DWORD
	v_min_i32_e32 v12, 15, v7
	v_cndmask_b32_e32 v3, 0, v3, vcc
	v_cndmask_b32_e32 v2, 7, v2, vcc
	v_cmp_eq_u32_e32 vcc, 0, v7
	v_cmp_eq_u64_e64 s[0:1], 0, v[2:3]
	v_lshl_or_b32 v3, v12, 3, v6
	v_and_or_b32 v2, v2, 7, v3
	s_and_b64 s[0:1], vcc, s[0:1]
	v_cndmask_b32_e64 v2, v2, 0, s[0:1]
.LBB35_138:                             ;   in Loop: Header=BB35_50 Depth=1
	s_or_b64 exec, exec, s[16:17]
.LBB35_139:                             ;   in Loop: Header=BB35_50 Depth=1
	s_andn2_saveexec_b64 s[0:1], s[10:11]
	s_or_b64 exec, exec, s[0:1]
.LBB35_140:                             ;   in Loop: Header=BB35_50 Depth=1
	s_andn2_saveexec_b64 s[0:1], s[8:9]
	s_or_b64 exec, exec, s[0:1]
	global_store_byte v[18:19], v2, off offset:4
	v_and_b32_e32 v2, 0xffff0000, v8
	v_mul_f32_e32 v2, v22, v2
	v_and_b32_e32 v3, 0x7f800000, v2
	v_cmp_ne_u32_e32 vcc, s13, v3
                                        ; implicit-def: $vgpr3
	s_and_saveexec_b64 s[0:1], vcc
	s_xor_b64 s[0:1], exec, s[0:1]
; %bb.141:                              ;   in Loop: Header=BB35_50 Depth=1
	v_bfe_u32 v3, v2, 16, 1
	v_add3_u32 v3, v2, v3, s18
                                        ; implicit-def: $vgpr2
; %bb.142:                              ;   in Loop: Header=BB35_50 Depth=1
	s_andn2_saveexec_b64 s[0:1], s[0:1]
; %bb.143:                              ;   in Loop: Header=BB35_50 Depth=1
	v_or_b32_e32 v3, 0x10000, v2
	v_cmp_eq_u32_sdwa vcc, v2, v13 src0_sel:WORD_0 src1_sel:DWORD
	v_cndmask_b32_e32 v3, v3, v2, vcc
; %bb.144:                              ;   in Loop: Header=BB35_50 Depth=1
	s_or_b64 exec, exec, s[0:1]
	v_and_b32_e32 v2, 0xffff0000, v3
	v_and_b32_e32 v3, 0xffff0000, v4
	v_mul_f32_e32 v2, v2, v3
	v_and_b32_e32 v3, 0x7f800000, v2
	v_cmp_ne_u32_e32 vcc, s13, v3
                                        ; implicit-def: $vgpr3
	s_and_saveexec_b64 s[0:1], vcc
	s_xor_b64 s[0:1], exec, s[0:1]
; %bb.145:                              ;   in Loop: Header=BB35_50 Depth=1
	v_bfe_u32 v3, v2, 16, 1
	v_add3_u32 v3, v2, v3, s18
                                        ; implicit-def: $vgpr2
; %bb.146:                              ;   in Loop: Header=BB35_50 Depth=1
	s_andn2_saveexec_b64 s[0:1], s[0:1]
; %bb.147:                              ;   in Loop: Header=BB35_50 Depth=1
	v_or_b32_e32 v3, 0x10000, v2
	v_cmp_eq_u32_sdwa vcc, v2, v13 src0_sel:WORD_0 src1_sel:DWORD
	v_cndmask_b32_e32 v3, v3, v2, vcc
; %bb.148:                              ;   in Loop: Header=BB35_50 Depth=1
	s_or_b64 exec, exec, s[0:1]
	v_and_b32_e32 v2, 0xffff0000, v3
	v_mul_f32_e32 v2, v23, v2
	v_min_f32_e32 v2, 0x43600000, v2
	v_max_f32_e32 v4, 0xc3600000, v2
	v_and_b32_e32 v12, 0x7f800000, v4
	v_or_b32_sdwa v2, v4, s19 dst_sel:DWORD dst_unused:UNUSED_PAD src0_sel:BYTE_3 src1_sel:DWORD
	v_cmp_ne_u64_e32 vcc, s[4:5], v[12:13]
	s_and_saveexec_b64 s[0:1], vcc
	s_xor_b64 s[8:9], exec, s[0:1]
	s_cbranch_execz .LBB35_158
; %bb.149:                              ;   in Loop: Header=BB35_50 Depth=1
	v_and_b32_e32 v12, 0x7fffffff, v4
	v_cmp_gt_u64_e32 vcc, s[6:7], v[12:13]
	s_and_saveexec_b64 s[0:1], vcc
	s_xor_b64 s[10:11], exec, s[0:1]
	s_cbranch_execz .LBB35_157
; %bb.150:                              ;   in Loop: Header=BB35_50 Depth=1
	v_cmp_ne_u32_e32 vcc, 0, v4
	v_mov_b32_e32 v2, 0
	s_and_saveexec_b64 s[16:17], vcc
	s_cbranch_execz .LBB35_156
; %bb.151:                              ;   in Loop: Header=BB35_50 Depth=1
	v_bfe_u32 v3, v4, 23, 8
	v_and_b32_e32 v2, 0x7fffff, v4
	v_sub_u32_e64 v6, s22, v3 clamp
	v_cmp_eq_u32_e32 vcc, 0, v3
	v_or_b32_e32 v7, 0x800000, v2
	v_cndmask_b32_e32 v20, v6, v25, vcc
	v_cndmask_b32_e32 v12, v7, v2, vcc
	v_add_u32_e32 v2, 20, v20
	v_add_u32_e32 v8, 0xffffff89, v3
	v_lshlrev_b64 v[2:3], v2, -1
	v_not_b32_e32 v2, v2
	v_add_u32_e32 v6, 19, v20
	v_and_b32_e32 v2, v12, v2
	v_mov_b32_e32 v3, v13
	v_lshlrev_b64 v[6:7], v6, 1
	v_cmp_eq_u64_e64 s[0:1], v[2:3], v[6:7]
	v_lshrrev_b64 v[2:3], v20, v[12:13]
	v_and_b32_e32 v12, 0x100000, v2
	v_cndmask_b32_e32 v6, v8, v26, vcc
	v_cmp_eq_u64_e32 vcc, 0, v[12:13]
	v_lshrrev_b32_e32 v7, 23, v2
	s_and_b64 vcc, vcc, s[0:1]
	v_add3_u32 v7, v6, v20, v7
	v_subbrev_co_u32_e32 v6, vcc, 0, v2, vcc
	v_and_b32_e32 v6, 0xfffff, v6
	v_add_co_u32_e32 v2, vcc, v6, v2
	v_add_u32_e32 v8, -1, v7
	v_addc_co_u32_e32 v3, vcc, 0, v3, vcc
	v_cmp_ne_u32_e32 vcc, 0, v8
                                        ; implicit-def: $vgpr6
	s_and_saveexec_b64 s[0:1], vcc
	s_xor_b64 s[0:1], exec, s[0:1]
; %bb.152:                              ;   in Loop: Header=BB35_50 Depth=1
	v_and_b32_e32 v12, 0x1000000, v2
	v_cmp_eq_u64_e32 vcc, 0, v[12:13]
	v_cndmask_b32_e32 v6, v7, v8, vcc
	v_bfe_u32 v7, v2, 24, 1
	v_lshrrev_b64 v[2:3], v7, v[2:3]
; %bb.153:                              ;   in Loop: Header=BB35_50 Depth=1
	s_andn2_saveexec_b64 s[0:1], s[0:1]
; %bb.154:                              ;   in Loop: Header=BB35_50 Depth=1
	v_bfe_u32 v6, v2, 23, 1
; %bb.155:                              ;   in Loop: Header=BB35_50 Depth=1
	s_or_b64 exec, exec, s[0:1]
	v_lshrrev_b64 v[2:3], 20, v[2:3]
	v_cmp_gt_i32_e32 vcc, 16, v6
	v_and_b32_sdwa v4, v4, s23 dst_sel:DWORD dst_unused:UNUSED_PAD src0_sel:BYTE_3 src1_sel:DWORD
	v_min_i32_e32 v7, 15, v6
	v_cndmask_b32_e32 v3, 0, v3, vcc
	v_cndmask_b32_e32 v2, 7, v2, vcc
	v_cmp_eq_u32_e32 vcc, 0, v6
	v_cmp_eq_u64_e64 s[0:1], 0, v[2:3]
	v_lshl_or_b32 v3, v7, 3, v4
	v_and_or_b32 v2, v2, 7, v3
	s_and_b64 s[0:1], vcc, s[0:1]
	v_cndmask_b32_e64 v2, v2, 0, s[0:1]
.LBB35_156:                             ;   in Loop: Header=BB35_50 Depth=1
	s_or_b64 exec, exec, s[16:17]
.LBB35_157:                             ;   in Loop: Header=BB35_50 Depth=1
	s_andn2_saveexec_b64 s[0:1], s[10:11]
	s_or_b64 exec, exec, s[0:1]
.LBB35_158:                             ;   in Loop: Header=BB35_50 Depth=1
	s_andn2_saveexec_b64 s[0:1], s[8:9]
	s_or_b64 exec, exec, s[0:1]
	global_store_byte v[18:19], v2, off offset:5
	v_lshlrev_b32_e32 v2, 16, v9
	v_mul_f32_e32 v2, v22, v2
	v_and_b32_e32 v3, 0x7f800000, v2
	v_cmp_ne_u32_e32 vcc, s13, v3
                                        ; implicit-def: $vgpr3
	s_and_saveexec_b64 s[0:1], vcc
	s_xor_b64 s[0:1], exec, s[0:1]
; %bb.159:                              ;   in Loop: Header=BB35_50 Depth=1
	v_bfe_u32 v3, v2, 16, 1
	v_add3_u32 v3, v2, v3, s18
                                        ; implicit-def: $vgpr2
; %bb.160:                              ;   in Loop: Header=BB35_50 Depth=1
	s_andn2_saveexec_b64 s[0:1], s[0:1]
; %bb.161:                              ;   in Loop: Header=BB35_50 Depth=1
	v_or_b32_e32 v3, 0x10000, v2
	v_cmp_eq_u32_sdwa vcc, v2, v13 src0_sel:WORD_0 src1_sel:DWORD
	v_cndmask_b32_e32 v3, v3, v2, vcc
; %bb.162:                              ;   in Loop: Header=BB35_50 Depth=1
	s_or_b64 exec, exec, s[0:1]
	v_and_b32_e32 v2, 0xffff0000, v3
	v_lshlrev_b32_e32 v3, 16, v5
	v_mul_f32_e32 v2, v2, v3
	v_and_b32_e32 v3, 0x7f800000, v2
	v_cmp_ne_u32_e32 vcc, s13, v3
                                        ; implicit-def: $vgpr3
	s_and_saveexec_b64 s[0:1], vcc
	s_xor_b64 s[0:1], exec, s[0:1]
; %bb.163:                              ;   in Loop: Header=BB35_50 Depth=1
	v_bfe_u32 v3, v2, 16, 1
	v_add3_u32 v3, v2, v3, s18
                                        ; implicit-def: $vgpr2
; %bb.164:                              ;   in Loop: Header=BB35_50 Depth=1
	s_andn2_saveexec_b64 s[0:1], s[0:1]
; %bb.165:                              ;   in Loop: Header=BB35_50 Depth=1
	v_or_b32_e32 v3, 0x10000, v2
	v_cmp_eq_u32_sdwa vcc, v2, v13 src0_sel:WORD_0 src1_sel:DWORD
	v_cndmask_b32_e32 v3, v3, v2, vcc
; %bb.166:                              ;   in Loop: Header=BB35_50 Depth=1
	s_or_b64 exec, exec, s[0:1]
	v_and_b32_e32 v2, 0xffff0000, v3
	v_mul_f32_e32 v2, v23, v2
	v_min_f32_e32 v2, 0x43600000, v2
	v_max_f32_e32 v4, 0xc3600000, v2
	v_and_b32_e32 v12, 0x7f800000, v4
	v_or_b32_sdwa v2, v4, s19 dst_sel:DWORD dst_unused:UNUSED_PAD src0_sel:BYTE_3 src1_sel:DWORD
	v_cmp_ne_u64_e32 vcc, s[4:5], v[12:13]
	s_and_saveexec_b64 s[0:1], vcc
	s_xor_b64 s[8:9], exec, s[0:1]
	s_cbranch_execz .LBB35_176
; %bb.167:                              ;   in Loop: Header=BB35_50 Depth=1
	v_and_b32_e32 v12, 0x7fffffff, v4
	v_cmp_gt_u64_e32 vcc, s[6:7], v[12:13]
	s_and_saveexec_b64 s[0:1], vcc
	s_xor_b64 s[10:11], exec, s[0:1]
	s_cbranch_execz .LBB35_175
; %bb.168:                              ;   in Loop: Header=BB35_50 Depth=1
	v_cmp_ne_u32_e32 vcc, 0, v4
	v_mov_b32_e32 v2, 0
	s_and_saveexec_b64 s[16:17], vcc
	s_cbranch_execz .LBB35_174
; %bb.169:                              ;   in Loop: Header=BB35_50 Depth=1
	v_bfe_u32 v3, v4, 23, 8
	v_and_b32_e32 v2, 0x7fffff, v4
	v_sub_u32_e64 v6, s22, v3 clamp
	v_cmp_eq_u32_e32 vcc, 0, v3
	v_or_b32_e32 v7, 0x800000, v2
	v_cndmask_b32_e32 v20, v6, v25, vcc
	v_cndmask_b32_e32 v12, v7, v2, vcc
	v_add_u32_e32 v2, 20, v20
	v_add_u32_e32 v8, 0xffffff89, v3
	v_lshlrev_b64 v[2:3], v2, -1
	v_not_b32_e32 v2, v2
	v_add_u32_e32 v6, 19, v20
	v_and_b32_e32 v2, v12, v2
	v_mov_b32_e32 v3, v13
	v_lshlrev_b64 v[6:7], v6, 1
	v_cmp_eq_u64_e64 s[0:1], v[2:3], v[6:7]
	v_lshrrev_b64 v[2:3], v20, v[12:13]
	v_and_b32_e32 v12, 0x100000, v2
	v_cndmask_b32_e32 v6, v8, v26, vcc
	v_cmp_eq_u64_e32 vcc, 0, v[12:13]
	v_lshrrev_b32_e32 v7, 23, v2
	s_and_b64 vcc, vcc, s[0:1]
	v_add3_u32 v7, v6, v20, v7
	v_subbrev_co_u32_e32 v6, vcc, 0, v2, vcc
	v_and_b32_e32 v6, 0xfffff, v6
	v_add_co_u32_e32 v2, vcc, v6, v2
	v_add_u32_e32 v8, -1, v7
	v_addc_co_u32_e32 v3, vcc, 0, v3, vcc
	v_cmp_ne_u32_e32 vcc, 0, v8
                                        ; implicit-def: $vgpr6
	s_and_saveexec_b64 s[0:1], vcc
	s_xor_b64 s[0:1], exec, s[0:1]
; %bb.170:                              ;   in Loop: Header=BB35_50 Depth=1
	v_and_b32_e32 v12, 0x1000000, v2
	v_cmp_eq_u64_e32 vcc, 0, v[12:13]
	v_cndmask_b32_e32 v6, v7, v8, vcc
	v_bfe_u32 v7, v2, 24, 1
	v_lshrrev_b64 v[2:3], v7, v[2:3]
; %bb.171:                              ;   in Loop: Header=BB35_50 Depth=1
	s_andn2_saveexec_b64 s[0:1], s[0:1]
; %bb.172:                              ;   in Loop: Header=BB35_50 Depth=1
	v_bfe_u32 v6, v2, 23, 1
; %bb.173:                              ;   in Loop: Header=BB35_50 Depth=1
	s_or_b64 exec, exec, s[0:1]
	v_lshrrev_b64 v[2:3], 20, v[2:3]
	v_cmp_gt_i32_e32 vcc, 16, v6
	v_and_b32_sdwa v4, v4, s23 dst_sel:DWORD dst_unused:UNUSED_PAD src0_sel:BYTE_3 src1_sel:DWORD
	v_min_i32_e32 v7, 15, v6
	v_cndmask_b32_e32 v3, 0, v3, vcc
	v_cndmask_b32_e32 v2, 7, v2, vcc
	v_cmp_eq_u32_e32 vcc, 0, v6
	v_cmp_eq_u64_e64 s[0:1], 0, v[2:3]
	v_lshl_or_b32 v3, v7, 3, v4
	v_and_or_b32 v2, v2, 7, v3
	s_and_b64 s[0:1], vcc, s[0:1]
	v_cndmask_b32_e64 v2, v2, 0, s[0:1]
.LBB35_174:                             ;   in Loop: Header=BB35_50 Depth=1
	s_or_b64 exec, exec, s[16:17]
.LBB35_175:                             ;   in Loop: Header=BB35_50 Depth=1
	s_andn2_saveexec_b64 s[0:1], s[10:11]
	s_or_b64 exec, exec, s[0:1]
.LBB35_176:                             ;   in Loop: Header=BB35_50 Depth=1
	s_andn2_saveexec_b64 s[0:1], s[8:9]
	s_or_b64 exec, exec, s[0:1]
	global_store_byte v[18:19], v2, off offset:6
	v_and_b32_e32 v2, 0xffff0000, v9
	v_mul_f32_e32 v2, v22, v2
	v_and_b32_e32 v3, 0x7f800000, v2
	v_cmp_ne_u32_e32 vcc, s13, v3
                                        ; implicit-def: $vgpr3
	s_and_saveexec_b64 s[0:1], vcc
	s_xor_b64 s[0:1], exec, s[0:1]
; %bb.177:                              ;   in Loop: Header=BB35_50 Depth=1
	v_bfe_u32 v3, v2, 16, 1
	v_add3_u32 v3, v2, v3, s18
                                        ; implicit-def: $vgpr2
; %bb.178:                              ;   in Loop: Header=BB35_50 Depth=1
	s_andn2_saveexec_b64 s[0:1], s[0:1]
; %bb.179:                              ;   in Loop: Header=BB35_50 Depth=1
	v_or_b32_e32 v3, 0x10000, v2
	v_cmp_eq_u32_sdwa vcc, v2, v13 src0_sel:WORD_0 src1_sel:DWORD
	v_cndmask_b32_e32 v3, v3, v2, vcc
; %bb.180:                              ;   in Loop: Header=BB35_50 Depth=1
	s_or_b64 exec, exec, s[0:1]
	v_and_b32_e32 v2, 0xffff0000, v3
	v_and_b32_e32 v3, 0xffff0000, v5
	v_mul_f32_e32 v2, v2, v3
	v_and_b32_e32 v3, 0x7f800000, v2
	v_cmp_ne_u32_e32 vcc, s13, v3
                                        ; implicit-def: $vgpr3
	s_and_saveexec_b64 s[0:1], vcc
	s_xor_b64 s[0:1], exec, s[0:1]
; %bb.181:                              ;   in Loop: Header=BB35_50 Depth=1
	v_bfe_u32 v3, v2, 16, 1
	v_add3_u32 v3, v2, v3, s18
                                        ; implicit-def: $vgpr2
; %bb.182:                              ;   in Loop: Header=BB35_50 Depth=1
	s_andn2_saveexec_b64 s[0:1], s[0:1]
; %bb.183:                              ;   in Loop: Header=BB35_50 Depth=1
	v_or_b32_e32 v3, 0x10000, v2
	v_cmp_eq_u32_sdwa vcc, v2, v13 src0_sel:WORD_0 src1_sel:DWORD
	v_cndmask_b32_e32 v3, v3, v2, vcc
; %bb.184:                              ;   in Loop: Header=BB35_50 Depth=1
	s_or_b64 exec, exec, s[0:1]
	v_and_b32_e32 v2, 0xffff0000, v3
	v_mul_f32_e32 v2, v23, v2
	v_min_f32_e32 v2, 0x43600000, v2
	v_max_f32_e32 v4, 0xc3600000, v2
	v_and_b32_e32 v12, 0x7f800000, v4
	v_or_b32_sdwa v2, v4, s19 dst_sel:DWORD dst_unused:UNUSED_PAD src0_sel:BYTE_3 src1_sel:DWORD
	v_cmp_ne_u64_e32 vcc, s[4:5], v[12:13]
	s_and_saveexec_b64 s[0:1], vcc
	s_xor_b64 s[8:9], exec, s[0:1]
	s_cbranch_execz .LBB35_49
; %bb.185:                              ;   in Loop: Header=BB35_50 Depth=1
	v_and_b32_e32 v12, 0x7fffffff, v4
	v_cmp_gt_u64_e32 vcc, s[6:7], v[12:13]
	s_and_saveexec_b64 s[0:1], vcc
	s_xor_b64 s[10:11], exec, s[0:1]
	s_cbranch_execz .LBB35_48
; %bb.186:                              ;   in Loop: Header=BB35_50 Depth=1
	v_cmp_ne_u32_e32 vcc, 0, v4
	v_mov_b32_e32 v2, 0
	s_and_saveexec_b64 s[16:17], vcc
	s_cbranch_execz .LBB35_47
; %bb.187:                              ;   in Loop: Header=BB35_50 Depth=1
	v_bfe_u32 v3, v4, 23, 8
	v_and_b32_e32 v2, 0x7fffff, v4
	v_sub_u32_e64 v5, s22, v3 clamp
	v_cmp_eq_u32_e32 vcc, 0, v3
	v_or_b32_e32 v6, 0x800000, v2
	v_cndmask_b32_e32 v5, v5, v25, vcc
	v_cndmask_b32_e32 v12, v6, v2, vcc
	v_add_u32_e32 v2, 20, v5
	v_add_u32_e32 v8, 0xffffff89, v3
	v_lshlrev_b64 v[2:3], v2, -1
	v_not_b32_e32 v2, v2
	v_add_u32_e32 v6, 19, v5
	v_and_b32_e32 v2, v12, v2
	v_mov_b32_e32 v3, v13
	v_lshlrev_b64 v[6:7], v6, 1
	v_cmp_eq_u64_e64 s[0:1], v[2:3], v[6:7]
	v_lshrrev_b64 v[2:3], v5, v[12:13]
	v_and_b32_e32 v12, 0x100000, v2
	v_cndmask_b32_e32 v6, v8, v26, vcc
	v_cmp_eq_u64_e32 vcc, 0, v[12:13]
	v_lshrrev_b32_e32 v7, 23, v2
	s_and_b64 vcc, vcc, s[0:1]
	v_add3_u32 v6, v6, v5, v7
	v_subbrev_co_u32_e32 v5, vcc, 0, v2, vcc
	v_and_b32_e32 v5, 0xfffff, v5
	v_add_co_u32_e32 v2, vcc, v5, v2
	v_add_u32_e32 v7, -1, v6
	v_addc_co_u32_e32 v3, vcc, 0, v3, vcc
	v_cmp_ne_u32_e32 vcc, 0, v7
                                        ; implicit-def: $vgpr5
	s_and_saveexec_b64 s[0:1], vcc
	s_xor_b64 s[0:1], exec, s[0:1]
; %bb.188:                              ;   in Loop: Header=BB35_50 Depth=1
	v_and_b32_e32 v12, 0x1000000, v2
	v_cmp_eq_u64_e32 vcc, 0, v[12:13]
	v_cndmask_b32_e32 v5, v6, v7, vcc
	v_bfe_u32 v6, v2, 24, 1
	v_lshrrev_b64 v[2:3], v6, v[2:3]
; %bb.189:                              ;   in Loop: Header=BB35_50 Depth=1
	s_andn2_saveexec_b64 s[0:1], s[0:1]
	s_cbranch_execz .LBB35_46
; %bb.190:                              ;   in Loop: Header=BB35_50 Depth=1
	v_bfe_u32 v5, v2, 23, 1
	s_branch .LBB35_46
.LBB35_191:
	s_endpgm
	.section	.rodata,"a",@progbits
	.p2align	6, 0x0
	.amdhsa_kernel _ZN4vllm42fused_add_rms_norm_static_fp8_quant_kernelIN3c108BFloat16ELi8ENS1_15Float8_e4m3fnuzEEENSt9enable_ifIXaagtT0_Li0Esr12_typeConvertIT_EE6existsEvE4typeEPT1_PS5_iSA_PKS5_PKffii
		.amdhsa_group_segment_fixed_size 68
		.amdhsa_private_segment_fixed_size 0
		.amdhsa_kernarg_size 320
		.amdhsa_user_sgpr_count 6
		.amdhsa_user_sgpr_private_segment_buffer 1
		.amdhsa_user_sgpr_dispatch_ptr 0
		.amdhsa_user_sgpr_queue_ptr 0
		.amdhsa_user_sgpr_kernarg_segment_ptr 1
		.amdhsa_user_sgpr_dispatch_id 0
		.amdhsa_user_sgpr_flat_scratch_init 0
		.amdhsa_user_sgpr_kernarg_preload_length 0
		.amdhsa_user_sgpr_kernarg_preload_offset 0
		.amdhsa_user_sgpr_private_segment_size 0
		.amdhsa_uses_dynamic_stack 0
		.amdhsa_system_sgpr_private_segment_wavefront_offset 0
		.amdhsa_system_sgpr_workgroup_id_x 1
		.amdhsa_system_sgpr_workgroup_id_y 0
		.amdhsa_system_sgpr_workgroup_id_z 0
		.amdhsa_system_sgpr_workgroup_info 0
		.amdhsa_system_vgpr_workitem_id 0
		.amdhsa_next_free_vgpr 31
		.amdhsa_next_free_sgpr 27
		.amdhsa_accum_offset 32
		.amdhsa_reserve_vcc 1
		.amdhsa_reserve_flat_scratch 0
		.amdhsa_float_round_mode_32 0
		.amdhsa_float_round_mode_16_64 0
		.amdhsa_float_denorm_mode_32 3
		.amdhsa_float_denorm_mode_16_64 3
		.amdhsa_dx10_clamp 1
		.amdhsa_ieee_mode 1
		.amdhsa_fp16_overflow 0
		.amdhsa_tg_split 0
		.amdhsa_exception_fp_ieee_invalid_op 0
		.amdhsa_exception_fp_denorm_src 0
		.amdhsa_exception_fp_ieee_div_zero 0
		.amdhsa_exception_fp_ieee_overflow 0
		.amdhsa_exception_fp_ieee_underflow 0
		.amdhsa_exception_fp_ieee_inexact 0
		.amdhsa_exception_int_div_zero 0
	.end_amdhsa_kernel
	.section	.text._ZN4vllm42fused_add_rms_norm_static_fp8_quant_kernelIN3c108BFloat16ELi8ENS1_15Float8_e4m3fnuzEEENSt9enable_ifIXaagtT0_Li0Esr12_typeConvertIT_EE6existsEvE4typeEPT1_PS5_iSA_PKS5_PKffii,"axG",@progbits,_ZN4vllm42fused_add_rms_norm_static_fp8_quant_kernelIN3c108BFloat16ELi8ENS1_15Float8_e4m3fnuzEEENSt9enable_ifIXaagtT0_Li0Esr12_typeConvertIT_EE6existsEvE4typeEPT1_PS5_iSA_PKS5_PKffii,comdat
.Lfunc_end35:
	.size	_ZN4vllm42fused_add_rms_norm_static_fp8_quant_kernelIN3c108BFloat16ELi8ENS1_15Float8_e4m3fnuzEEENSt9enable_ifIXaagtT0_Li0Esr12_typeConvertIT_EE6existsEvE4typeEPT1_PS5_iSA_PKS5_PKffii, .Lfunc_end35-_ZN4vllm42fused_add_rms_norm_static_fp8_quant_kernelIN3c108BFloat16ELi8ENS1_15Float8_e4m3fnuzEEENSt9enable_ifIXaagtT0_Li0Esr12_typeConvertIT_EE6existsEvE4typeEPT1_PS5_iSA_PKS5_PKffii
                                        ; -- End function
	.section	.AMDGPU.csdata,"",@progbits
; Kernel info:
; codeLenInByte = 6960
; NumSgprs: 31
; NumVgprs: 31
; NumAgprs: 0
; TotalNumVgprs: 31
; ScratchSize: 0
; MemoryBound: 0
; FloatMode: 240
; IeeeMode: 1
; LDSByteSize: 68 bytes/workgroup (compile time only)
; SGPRBlocks: 3
; VGPRBlocks: 3
; NumSGPRsForWavesPerEU: 31
; NumVGPRsForWavesPerEU: 31
; AccumOffset: 32
; Occupancy: 8
; WaveLimiterHint : 0
; COMPUTE_PGM_RSRC2:SCRATCH_EN: 0
; COMPUTE_PGM_RSRC2:USER_SGPR: 6
; COMPUTE_PGM_RSRC2:TRAP_HANDLER: 0
; COMPUTE_PGM_RSRC2:TGID_X_EN: 1
; COMPUTE_PGM_RSRC2:TGID_Y_EN: 0
; COMPUTE_PGM_RSRC2:TGID_Z_EN: 0
; COMPUTE_PGM_RSRC2:TIDIG_COMP_CNT: 0
; COMPUTE_PGM_RSRC3_GFX90A:ACCUM_OFFSET: 7
; COMPUTE_PGM_RSRC3_GFX90A:TG_SPLIT: 0
	.section	.text._ZN4vllm42fused_add_rms_norm_static_fp8_quant_kernelIfLi0EN3c1013Float8_e4m3fnEEENSt9enable_ifIXooeqT0_Li0Entsr12_typeConvertIT_EE6existsEvE4typeEPT1_PS4_iS9_PKS4_PKffii,"axG",@progbits,_ZN4vllm42fused_add_rms_norm_static_fp8_quant_kernelIfLi0EN3c1013Float8_e4m3fnEEENSt9enable_ifIXooeqT0_Li0Entsr12_typeConvertIT_EE6existsEvE4typeEPT1_PS4_iS9_PKS4_PKffii,comdat
	.protected	_ZN4vllm42fused_add_rms_norm_static_fp8_quant_kernelIfLi0EN3c1013Float8_e4m3fnEEENSt9enable_ifIXooeqT0_Li0Entsr12_typeConvertIT_EE6existsEvE4typeEPT1_PS4_iS9_PKS4_PKffii ; -- Begin function _ZN4vllm42fused_add_rms_norm_static_fp8_quant_kernelIfLi0EN3c1013Float8_e4m3fnEEENSt9enable_ifIXooeqT0_Li0Entsr12_typeConvertIT_EE6existsEvE4typeEPT1_PS4_iS9_PKS4_PKffii
	.globl	_ZN4vllm42fused_add_rms_norm_static_fp8_quant_kernelIfLi0EN3c1013Float8_e4m3fnEEENSt9enable_ifIXooeqT0_Li0Entsr12_typeConvertIT_EE6existsEvE4typeEPT1_PS4_iS9_PKS4_PKffii
	.p2align	8
	.type	_ZN4vllm42fused_add_rms_norm_static_fp8_quant_kernelIfLi0EN3c1013Float8_e4m3fnEEENSt9enable_ifIXooeqT0_Li0Entsr12_typeConvertIT_EE6existsEvE4typeEPT1_PS4_iS9_PKS4_PKffii,@function
_ZN4vllm42fused_add_rms_norm_static_fp8_quant_kernelIfLi0EN3c1013Float8_e4m3fnEEENSt9enable_ifIXooeqT0_Li0Entsr12_typeConvertIT_EE6existsEvE4typeEPT1_PS4_iS9_PKS4_PKffii: ; @_ZN4vllm42fused_add_rms_norm_static_fp8_quant_kernelIfLi0EN3c1013Float8_e4m3fnEEENSt9enable_ifIXooeqT0_Li0Entsr12_typeConvertIT_EE6existsEvE4typeEPT1_PS4_iS9_PKS4_PKffii
; %bb.0:
	s_load_dword s20, s[4:5], 0x38
	s_load_dwordx2 s[12:13], s[4:5], 0x18
                                        ; implicit-def: $sgpr16
                                        ; implicit-def: $sgpr7
	s_waitcnt lgkmcnt(0)
	v_cmp_gt_i32_e64 s[0:1], s20, v0
	v_cmp_le_i32_e32 vcc, s20, v0
	s_and_saveexec_b64 s[2:3], vcc
	s_xor_b64 s[2:3], exec, s[2:3]
	s_cbranch_execz .LBB36_2
; %bb.1:
	s_load_dword s7, s[4:5], 0x4c
	s_mov_b32 s16, 0
	s_waitcnt lgkmcnt(0)
	s_and_b32 s7, s7, 0xffff
.LBB36_2:
	s_or_saveexec_b64 s[2:3], s[2:3]
	s_load_dwordx2 s[14:15], s[4:5], 0x0
	s_load_dwordx4 s[8:11], s[4:5], 0x20
	v_mov_b32_e32 v4, s16
	v_mov_b32_e32 v6, s7
	s_mul_i32 s21, s6, s20
	s_xor_b64 exec, exec, s[2:3]
	s_cbranch_execz .LBB36_6
; %bb.3:
	s_load_dword s7, s[4:5], 0x10
	s_load_dword s22, s[4:5], 0x4c
	s_load_dwordx2 s[16:17], s[4:5], 0x8
	s_mov_b64 s[18:19], 0
	v_mov_b32_e32 v3, 0
	s_waitcnt lgkmcnt(0)
	s_mul_i32 s7, s6, s7
	s_and_b32 s6, s22, 0xffff
	v_mov_b32_e32 v1, s17
	v_mov_b32_e32 v5, s13
	;; [unrolled: 1-line block ×4, first 2 shown]
.LBB36_4:                               ; =>This Inner Loop Header: Depth=1
	v_add_u32_e32 v2, s7, v6
	v_lshlrev_b64 v[8:9], 2, v[2:3]
	v_add_u32_e32 v2, s21, v6
	v_add_co_u32_e32 v8, vcc, s16, v8
	v_addc_co_u32_e32 v9, vcc, v1, v9, vcc
	v_lshlrev_b64 v[10:11], 2, v[2:3]
	global_load_dword v2, v[8:9], off
	v_add_co_u32_e32 v8, vcc, s12, v10
	v_addc_co_u32_e32 v9, vcc, v5, v11, vcc
	global_load_dword v7, v[8:9], off
	v_add_u32_e32 v6, s6, v6
	v_cmp_le_i32_e32 vcc, s20, v6
	s_or_b64 s[18:19], vcc, s[18:19]
	s_waitcnt vmcnt(0)
	v_add_f32_e32 v2, v2, v7
	v_fmac_f32_e32 v4, v2, v2
	global_store_dword v[8:9], v2, off
	s_andn2_b64 exec, exec, s[18:19]
	s_cbranch_execnz .LBB36_4
; %bb.5:
	s_or_b64 exec, exec, s[18:19]
	v_mov_b32_e32 v6, s6
.LBB36_6:
	s_or_b64 exec, exec, s[2:3]
	v_mbcnt_lo_u32_b32 v1, -1, 0
	v_mbcnt_hi_u32_b32 v1, -1, v1
	v_and_b32_e32 v2, 63, v1
	v_cmp_ne_u32_e32 vcc, 63, v2
	v_addc_co_u32_e32 v3, vcc, 0, v1, vcc
	v_lshlrev_b32_e32 v3, 2, v3
	ds_bpermute_b32 v3, v3, v4
	v_and_b32_e32 v5, 0x3c0, v0
	v_sub_u32_e64 v5, v6, v5 clamp
	v_add_u32_e32 v7, 1, v1
	v_cmp_lt_u32_e32 vcc, v7, v5
	s_waitcnt lgkmcnt(0)
	v_add_f32_e32 v3, v4, v3
	v_cndmask_b32_e32 v3, v4, v3, vcc
	v_cmp_gt_u32_e32 vcc, 62, v2
	v_cndmask_b32_e64 v4, 0, 1, vcc
	v_lshlrev_b32_e32 v4, 1, v4
	v_add_lshl_u32 v4, v4, v1, 2
	ds_bpermute_b32 v4, v4, v3
	v_add_u32_e32 v7, 2, v1
	v_cmp_lt_u32_e32 vcc, v7, v5
	v_add_u32_e32 v7, 4, v1
	s_waitcnt lgkmcnt(0)
	v_add_f32_e32 v4, v3, v4
	v_cndmask_b32_e32 v3, v3, v4, vcc
	v_cmp_gt_u32_e32 vcc, 60, v2
	v_cndmask_b32_e64 v4, 0, 1, vcc
	v_lshlrev_b32_e32 v4, 2, v4
	v_add_lshl_u32 v4, v4, v1, 2
	ds_bpermute_b32 v4, v4, v3
	v_cmp_lt_u32_e32 vcc, v7, v5
	v_add_u32_e32 v7, 8, v1
	s_waitcnt lgkmcnt(0)
	v_add_f32_e32 v4, v3, v4
	v_cndmask_b32_e32 v3, v3, v4, vcc
	v_cmp_gt_u32_e32 vcc, 56, v2
	v_cndmask_b32_e64 v4, 0, 1, vcc
	v_lshlrev_b32_e32 v4, 3, v4
	v_add_lshl_u32 v4, v4, v1, 2
	ds_bpermute_b32 v4, v4, v3
	;; [unrolled: 10-line block ×3, first 2 shown]
	v_cmp_lt_u32_e32 vcc, v7, v5
	s_waitcnt lgkmcnt(0)
	v_add_f32_e32 v4, v3, v4
	v_cndmask_b32_e32 v3, v3, v4, vcc
	v_cmp_gt_u32_e32 vcc, 32, v2
	v_cndmask_b32_e64 v2, 0, 1, vcc
	v_lshlrev_b32_e32 v2, 5, v2
	v_add_lshl_u32 v2, v2, v1, 2
	ds_bpermute_b32 v2, v2, v3
	v_add_u32_e32 v4, 32, v1
	v_cmp_lt_u32_e32 vcc, v4, v5
	s_waitcnt lgkmcnt(0)
	v_add_f32_e32 v2, v3, v2
	v_cndmask_b32_e32 v2, v3, v2, vcc
	v_cmp_eq_u32_e32 vcc, 0, v1
	s_and_saveexec_b64 s[2:3], vcc
	s_cbranch_execz .LBB36_8
; %bb.7:
	v_lshrrev_b32_e32 v3, 4, v0
	v_and_b32_e32 v3, 60, v3
	ds_write_b32 v3, v2
.LBB36_8:
	s_or_b64 exec, exec, s[2:3]
	v_cmp_gt_u32_e32 vcc, 16, v0
	s_waitcnt lgkmcnt(0)
	s_barrier
	s_and_saveexec_b64 s[6:7], vcc
	s_cbranch_execz .LBB36_10
; %bb.9:
	v_lshlrev_b32_e32 v2, 2, v1
	ds_read_b32 v2, v2
	v_and_b32_e32 v3, 15, v1
	v_cmp_ne_u32_e32 vcc, 15, v3
	v_addc_co_u32_e32 v4, vcc, 0, v1, vcc
	v_lshlrev_b32_e32 v4, 2, v4
	s_waitcnt lgkmcnt(0)
	ds_bpermute_b32 v4, v4, v2
	v_add_u32_e32 v5, 63, v6
	v_lshrrev_b32_e32 v5, 6, v5
	v_add_u32_e32 v7, 1, v3
	v_cmp_gt_u32_e64 s[2:3], 14, v3
	v_cmp_lt_u32_e32 vcc, v7, v5
	v_cndmask_b32_e64 v7, 0, 1, s[2:3]
	s_waitcnt lgkmcnt(0)
	v_add_f32_e32 v4, v2, v4
	v_lshlrev_b32_e32 v7, 1, v7
	v_cndmask_b32_e32 v4, v2, v4, vcc
	v_add_lshl_u32 v7, v7, v1, 2
	ds_bpermute_b32 v7, v7, v4
	v_add_u32_e32 v8, 2, v3
	v_cmp_lt_u32_e64 s[2:3], v8, v5
	v_add_u32_e32 v8, 4, v3
	s_waitcnt lgkmcnt(0)
	v_add_f32_e32 v7, v4, v7
	v_cndmask_b32_e64 v4, v4, v7, s[2:3]
	v_cmp_gt_u32_e64 s[2:3], 12, v3
	v_cndmask_b32_e64 v7, 0, 1, s[2:3]
	v_lshlrev_b32_e32 v7, 2, v7
	v_add_lshl_u32 v7, v7, v1, 2
	ds_bpermute_b32 v7, v7, v4
	v_cmp_lt_u32_e64 s[2:3], v8, v5
	s_waitcnt lgkmcnt(0)
	v_add_f32_e32 v7, v4, v7
	v_cndmask_b32_e64 v4, v4, v7, s[2:3]
	v_cmp_gt_u32_e64 s[2:3], 8, v3
	v_cndmask_b32_e64 v7, 0, 1, s[2:3]
	v_lshlrev_b32_e32 v7, 3, v7
	v_add_lshl_u32 v1, v7, v1, 2
	ds_bpermute_b32 v1, v1, v4
	v_add_u32_e32 v3, 8, v3
	v_cmp_lt_u32_e64 s[2:3], v3, v5
	s_waitcnt lgkmcnt(0)
	v_add_f32_e32 v1, v4, v1
	v_cndmask_b32_e64 v1, v4, v1, s[2:3]
	v_cndmask_b32_e32 v2, v2, v1, vcc
.LBB36_10:
	s_or_b64 exec, exec, s[6:7]
	v_cmp_eq_u32_e32 vcc, 0, v0
	s_and_saveexec_b64 s[2:3], vcc
	s_cbranch_execz .LBB36_12
; %bb.11:
	v_cvt_f32_i32_e32 v1, s20
	s_load_dword s6, s[4:5], 0x30
	v_div_scale_f32 v3, s[4:5], v1, v1, v2
	v_rcp_f32_e32 v4, v3
	v_div_scale_f32 v5, vcc, v2, v1, v2
	s_mov_b32 s4, 0x800000
	v_fma_f32 v7, -v3, v4, 1.0
	v_fmac_f32_e32 v4, v7, v4
	v_mul_f32_e32 v7, v5, v4
	v_fma_f32 v8, -v3, v7, v5
	v_fmac_f32_e32 v7, v8, v4
	v_fma_f32 v3, -v3, v7, v5
	v_div_fmas_f32 v3, v3, v4, v7
	v_div_fixup_f32 v1, v3, v1, v2
	s_waitcnt lgkmcnt(0)
	v_add_f32_e32 v1, s6, v1
	v_mul_f32_e32 v2, 0x4b800000, v1
	v_cmp_gt_f32_e32 vcc, s4, v1
	v_cndmask_b32_e32 v1, v1, v2, vcc
	v_rsq_f32_e32 v1, v1
	v_mul_f32_e32 v2, 0x45800000, v1
	v_cndmask_b32_e32 v1, v1, v2, vcc
	v_mov_b32_e32 v2, 0
	ds_write_b32 v2, v1 offset:64
.LBB36_12:
	s_or_b64 exec, exec, s[2:3]
	s_waitcnt lgkmcnt(0)
	s_barrier
	s_and_saveexec_b64 s[2:3], s[0:1]
	s_cbranch_execz .LBB36_31
; %bb.13:
	s_load_dword s4, s[10:11], 0x0
	v_mov_b32_e32 v3, 0
	ds_read_b32 v7, v3 offset:64
	s_mov_b64 s[2:3], 0
	v_mov_b32_e32 v9, s13
	s_waitcnt lgkmcnt(0)
	v_div_scale_f32 v1, s[0:1], s4, s4, 1.0
	v_rcp_f32_e32 v2, v1
	v_div_scale_f32 v4, vcc, 1.0, s4, 1.0
	v_mov_b32_e32 v10, s9
	v_fma_f32 v5, -v1, v2, 1.0
	v_fmac_f32_e32 v2, v5, v2
	v_mul_f32_e32 v5, v4, v2
	v_fma_f32 v8, -v1, v5, v4
	v_fmac_f32_e32 v5, v8, v2
	v_fma_f32 v1, -v1, v5, v4
	v_div_fmas_f32 v1, v1, v2, v5
	v_div_fixup_f32 v8, v1, s4, 1.0
	s_movk_i32 s9, 0x80
	s_mov_b64 s[4:5], 0x7f800000
	s_mov_b64 s[6:7], 0x43e00001
	s_movk_i32 s13, 0x79
	s_movk_i32 s22, 0x7f
	v_mov_b32_e32 v11, 0x78
	v_mov_b32_e32 v12, 0xffffff89
	s_branch .LBB36_15
.LBB36_14:                              ;   in Loop: Header=BB36_15 Depth=1
	s_or_b64 exec, exec, s[0:1]
	v_mov_b32_e32 v1, s15
	v_add_co_u32_e32 v4, vcc, s14, v2
	v_addc_co_u32_e32 v5, vcc, 0, v1, vcc
	v_add_u32_e32 v0, v0, v6
	v_cmp_le_i32_e32 vcc, s20, v0
	s_or_b64 s[2:3], vcc, s[2:3]
	global_store_byte v[4:5], v13, off
	s_andn2_b64 exec, exec, s[2:3]
	s_cbranch_execz .LBB36_31
.LBB36_15:                              ; =>This Inner Loop Header: Depth=1
	v_add_u32_e32 v2, s21, v0
	v_lshlrev_b64 v[4:5], 2, v[2:3]
	v_add_co_u32_e32 v4, vcc, s12, v4
	v_addc_co_u32_e32 v5, vcc, v9, v5, vcc
	v_ashrrev_i32_e32 v1, 31, v0
	global_load_dword v13, v[4:5], off
	v_lshlrev_b64 v[4:5], 2, v[0:1]
	v_add_co_u32_e32 v4, vcc, s8, v4
	v_addc_co_u32_e32 v5, vcc, v10, v5, vcc
	global_load_dword v1, v[4:5], off
	v_mov_b32_e32 v17, v3
	v_mov_b32_e32 v5, v3
	s_waitcnt vmcnt(1)
	v_mul_f32_e32 v4, v13, v7
	s_waitcnt vmcnt(0)
	v_mul_f32_e32 v1, v4, v1
	v_mul_f32_e32 v1, v8, v1
	v_min_f32_e32 v1, 0x43e00000, v1
	v_max_f32_e32 v14, 0xc3e00000, v1
	v_and_b32_sdwa v1, v14, s9 dst_sel:DWORD dst_unused:UNUSED_PAD src0_sel:BYTE_3 src1_sel:DWORD
	v_and_b32_e32 v16, 0x7f800000, v14
	v_and_b32_e32 v4, 0x7fffff, v14
	v_or_b32_e32 v13, 0x7e, v1
	v_cmp_ne_u64_e32 vcc, s[4:5], v[16:17]
	s_and_saveexec_b64 s[0:1], vcc
	s_xor_b64 s[10:11], exec, s[0:1]
	s_cbranch_execz .LBB36_29
; %bb.16:                               ;   in Loop: Header=BB36_15 Depth=1
	v_and_b32_e32 v16, 0x7fffffff, v14
	v_mov_b32_e32 v17, v3
	v_cmp_gt_u64_e32 vcc, s[6:7], v[16:17]
	s_and_saveexec_b64 s[0:1], vcc
	s_xor_b64 s[16:17], exec, s[0:1]
	s_cbranch_execz .LBB36_28
; %bb.17:                               ;   in Loop: Header=BB36_15 Depth=1
	v_cmp_ne_u32_e32 vcc, 0, v14
	v_mov_b32_e32 v13, 0
	s_and_saveexec_b64 s[18:19], vcc
	s_cbranch_execz .LBB36_27
; %bb.18:                               ;   in Loop: Header=BB36_15 Depth=1
	v_bfe_u32 v13, v14, 23, 8
	v_sub_u32_e64 v14, s13, v13 clamp
	v_cmp_eq_u32_e32 vcc, 0, v13
	v_add_u32_e32 v18, 0xffffff88, v13
	v_cndmask_b32_e32 v13, v14, v11, vcc
	v_or_b32_e32 v15, 0x800000, v4
	v_add_u32_e32 v14, 20, v13
	v_cndmask_b32_e32 v4, v15, v4, vcc
	v_lshlrev_b64 v[14:15], v14, -1
	v_not_b32_e32 v15, v15
	v_not_b32_e32 v14, v14
	v_add_u32_e32 v16, 19, v13
	v_and_b32_e32 v15, 0, v15
	v_and_b32_e32 v14, v4, v14
	v_lshlrev_b64 v[16:17], v16, 1
	v_lshrrev_b64 v[4:5], v13, v[4:5]
	v_cmp_eq_u64_e64 s[0:1], v[14:15], v[16:17]
	v_and_b32_e32 v16, 0x100000, v4
	v_mov_b32_e32 v17, v3
	v_cndmask_b32_e32 v14, v18, v12, vcc
	v_cmp_eq_u64_e32 vcc, 0, v[16:17]
	v_lshrrev_b32_e32 v15, 23, v4
	s_and_b64 vcc, vcc, s[0:1]
	v_add3_u32 v13, v14, v13, v15
	v_subbrev_co_u32_e32 v14, vcc, 0, v4, vcc
	v_and_b32_e32 v14, 0xfffff, v14
	v_add_co_u32_e32 v4, vcc, v14, v4
	v_add_u32_e32 v15, -1, v13
	v_addc_co_u32_e32 v5, vcc, 0, v5, vcc
	v_cmp_ne_u32_e32 vcc, 0, v15
                                        ; implicit-def: $vgpr14
	s_and_saveexec_b64 s[0:1], vcc
	s_xor_b64 s[0:1], exec, s[0:1]
; %bb.19:                               ;   in Loop: Header=BB36_15 Depth=1
	v_and_b32_e32 v16, 0x1000000, v4
	v_mov_b32_e32 v17, v3
	v_cmp_eq_u64_e32 vcc, 0, v[16:17]
	v_cndmask_b32_e32 v14, v13, v15, vcc
	v_bfe_u32 v13, v4, 24, 1
	v_lshrrev_b64 v[4:5], v13, v[4:5]
; %bb.20:                               ;   in Loop: Header=BB36_15 Depth=1
	s_andn2_saveexec_b64 s[0:1], s[0:1]
; %bb.21:                               ;   in Loop: Header=BB36_15 Depth=1
	v_bfe_u32 v14, v4, 23, 1
; %bb.22:                               ;   in Loop: Header=BB36_15 Depth=1
	s_or_b64 exec, exec, s[0:1]
	v_lshrrev_b64 v[4:5], 20, v[4:5]
	v_cmp_gt_i32_e32 vcc, 16, v14
	v_cndmask_b32_e32 v5, 0, v5, vcc
	v_cndmask_b32_e32 v4, 7, v4, vcc
	v_cmp_ne_u32_e32 vcc, 0, v14
	v_cmp_ne_u64_e64 s[0:1], 0, v[4:5]
	s_or_b64 s[0:1], vcc, s[0:1]
                                        ; implicit-def: $vgpr13
	s_and_saveexec_b64 s[24:25], s[0:1]
	s_xor_b64 s[0:1], exec, s[24:25]
; %bb.23:                               ;   in Loop: Header=BB36_15 Depth=1
	v_min_i32_e32 v5, 15, v14
	v_lshl_or_b32 v1, v5, 3, v1
	v_and_or_b32 v13, v4, 7, v1
                                        ; implicit-def: $vgpr1
; %bb.24:                               ;   in Loop: Header=BB36_15 Depth=1
	s_andn2_saveexec_b64 s[0:1], s[0:1]
; %bb.25:                               ;   in Loop: Header=BB36_15 Depth=1
	v_mov_b32_e32 v13, v1
; %bb.26:                               ;   in Loop: Header=BB36_15 Depth=1
	s_or_b64 exec, exec, s[0:1]
.LBB36_27:                              ;   in Loop: Header=BB36_15 Depth=1
	s_or_b64 exec, exec, s[18:19]
.LBB36_28:                              ;   in Loop: Header=BB36_15 Depth=1
	s_andn2_saveexec_b64 s[0:1], s[16:17]
	s_or_b64 exec, exec, s[0:1]
                                        ; implicit-def: $vgpr14
                                        ; implicit-def: $vgpr4_vgpr5
.LBB36_29:                              ;   in Loop: Header=BB36_15 Depth=1
	s_andn2_saveexec_b64 s[0:1], s[10:11]
	s_cbranch_execz .LBB36_14
; %bb.30:                               ;   in Loop: Header=BB36_15 Depth=1
	v_or_b32_sdwa v1, v14, s22 dst_sel:DWORD dst_unused:UNUSED_PAD src0_sel:BYTE_3 src1_sel:DWORD
	v_cmp_eq_u64_e32 vcc, 0, v[4:5]
	v_cndmask_b32_e32 v13, v1, v13, vcc
	s_branch .LBB36_14
.LBB36_31:
	s_endpgm
	.section	.rodata,"a",@progbits
	.p2align	6, 0x0
	.amdhsa_kernel _ZN4vllm42fused_add_rms_norm_static_fp8_quant_kernelIfLi0EN3c1013Float8_e4m3fnEEENSt9enable_ifIXooeqT0_Li0Entsr12_typeConvertIT_EE6existsEvE4typeEPT1_PS4_iS9_PKS4_PKffii
		.amdhsa_group_segment_fixed_size 68
		.amdhsa_private_segment_fixed_size 0
		.amdhsa_kernarg_size 320
		.amdhsa_user_sgpr_count 6
		.amdhsa_user_sgpr_private_segment_buffer 1
		.amdhsa_user_sgpr_dispatch_ptr 0
		.amdhsa_user_sgpr_queue_ptr 0
		.amdhsa_user_sgpr_kernarg_segment_ptr 1
		.amdhsa_user_sgpr_dispatch_id 0
		.amdhsa_user_sgpr_flat_scratch_init 0
		.amdhsa_user_sgpr_kernarg_preload_length 0
		.amdhsa_user_sgpr_kernarg_preload_offset 0
		.amdhsa_user_sgpr_private_segment_size 0
		.amdhsa_uses_dynamic_stack 0
		.amdhsa_system_sgpr_private_segment_wavefront_offset 0
		.amdhsa_system_sgpr_workgroup_id_x 1
		.amdhsa_system_sgpr_workgroup_id_y 0
		.amdhsa_system_sgpr_workgroup_id_z 0
		.amdhsa_system_sgpr_workgroup_info 0
		.amdhsa_system_vgpr_workitem_id 0
		.amdhsa_next_free_vgpr 19
		.amdhsa_next_free_sgpr 26
		.amdhsa_accum_offset 20
		.amdhsa_reserve_vcc 1
		.amdhsa_reserve_flat_scratch 0
		.amdhsa_float_round_mode_32 0
		.amdhsa_float_round_mode_16_64 0
		.amdhsa_float_denorm_mode_32 3
		.amdhsa_float_denorm_mode_16_64 3
		.amdhsa_dx10_clamp 1
		.amdhsa_ieee_mode 1
		.amdhsa_fp16_overflow 0
		.amdhsa_tg_split 0
		.amdhsa_exception_fp_ieee_invalid_op 0
		.amdhsa_exception_fp_denorm_src 0
		.amdhsa_exception_fp_ieee_div_zero 0
		.amdhsa_exception_fp_ieee_overflow 0
		.amdhsa_exception_fp_ieee_underflow 0
		.amdhsa_exception_fp_ieee_inexact 0
		.amdhsa_exception_int_div_zero 0
	.end_amdhsa_kernel
	.section	.text._ZN4vllm42fused_add_rms_norm_static_fp8_quant_kernelIfLi0EN3c1013Float8_e4m3fnEEENSt9enable_ifIXooeqT0_Li0Entsr12_typeConvertIT_EE6existsEvE4typeEPT1_PS4_iS9_PKS4_PKffii,"axG",@progbits,_ZN4vllm42fused_add_rms_norm_static_fp8_quant_kernelIfLi0EN3c1013Float8_e4m3fnEEENSt9enable_ifIXooeqT0_Li0Entsr12_typeConvertIT_EE6existsEvE4typeEPT1_PS4_iS9_PKS4_PKffii,comdat
.Lfunc_end36:
	.size	_ZN4vllm42fused_add_rms_norm_static_fp8_quant_kernelIfLi0EN3c1013Float8_e4m3fnEEENSt9enable_ifIXooeqT0_Li0Entsr12_typeConvertIT_EE6existsEvE4typeEPT1_PS4_iS9_PKS4_PKffii, .Lfunc_end36-_ZN4vllm42fused_add_rms_norm_static_fp8_quant_kernelIfLi0EN3c1013Float8_e4m3fnEEENSt9enable_ifIXooeqT0_Li0Entsr12_typeConvertIT_EE6existsEvE4typeEPT1_PS4_iS9_PKS4_PKffii
                                        ; -- End function
	.section	.AMDGPU.csdata,"",@progbits
; Kernel info:
; codeLenInByte = 1848
; NumSgprs: 30
; NumVgprs: 19
; NumAgprs: 0
; TotalNumVgprs: 19
; ScratchSize: 0
; MemoryBound: 0
; FloatMode: 240
; IeeeMode: 1
; LDSByteSize: 68 bytes/workgroup (compile time only)
; SGPRBlocks: 3
; VGPRBlocks: 2
; NumSGPRsForWavesPerEU: 30
; NumVGPRsForWavesPerEU: 19
; AccumOffset: 20
; Occupancy: 8
; WaveLimiterHint : 0
; COMPUTE_PGM_RSRC2:SCRATCH_EN: 0
; COMPUTE_PGM_RSRC2:USER_SGPR: 6
; COMPUTE_PGM_RSRC2:TRAP_HANDLER: 0
; COMPUTE_PGM_RSRC2:TGID_X_EN: 1
; COMPUTE_PGM_RSRC2:TGID_Y_EN: 0
; COMPUTE_PGM_RSRC2:TGID_Z_EN: 0
; COMPUTE_PGM_RSRC2:TIDIG_COMP_CNT: 0
; COMPUTE_PGM_RSRC3_GFX90A:ACCUM_OFFSET: 4
; COMPUTE_PGM_RSRC3_GFX90A:TG_SPLIT: 0
	.section	.text._ZN4vllm42fused_add_rms_norm_static_fp8_quant_kernelIfLi0EN3c1015Float8_e4m3fnuzEEENSt9enable_ifIXooeqT0_Li0Entsr12_typeConvertIT_EE6existsEvE4typeEPT1_PS4_iS9_PKS4_PKffii,"axG",@progbits,_ZN4vllm42fused_add_rms_norm_static_fp8_quant_kernelIfLi0EN3c1015Float8_e4m3fnuzEEENSt9enable_ifIXooeqT0_Li0Entsr12_typeConvertIT_EE6existsEvE4typeEPT1_PS4_iS9_PKS4_PKffii,comdat
	.protected	_ZN4vllm42fused_add_rms_norm_static_fp8_quant_kernelIfLi0EN3c1015Float8_e4m3fnuzEEENSt9enable_ifIXooeqT0_Li0Entsr12_typeConvertIT_EE6existsEvE4typeEPT1_PS4_iS9_PKS4_PKffii ; -- Begin function _ZN4vllm42fused_add_rms_norm_static_fp8_quant_kernelIfLi0EN3c1015Float8_e4m3fnuzEEENSt9enable_ifIXooeqT0_Li0Entsr12_typeConvertIT_EE6existsEvE4typeEPT1_PS4_iS9_PKS4_PKffii
	.globl	_ZN4vllm42fused_add_rms_norm_static_fp8_quant_kernelIfLi0EN3c1015Float8_e4m3fnuzEEENSt9enable_ifIXooeqT0_Li0Entsr12_typeConvertIT_EE6existsEvE4typeEPT1_PS4_iS9_PKS4_PKffii
	.p2align	8
	.type	_ZN4vllm42fused_add_rms_norm_static_fp8_quant_kernelIfLi0EN3c1015Float8_e4m3fnuzEEENSt9enable_ifIXooeqT0_Li0Entsr12_typeConvertIT_EE6existsEvE4typeEPT1_PS4_iS9_PKS4_PKffii,@function
_ZN4vllm42fused_add_rms_norm_static_fp8_quant_kernelIfLi0EN3c1015Float8_e4m3fnuzEEENSt9enable_ifIXooeqT0_Li0Entsr12_typeConvertIT_EE6existsEvE4typeEPT1_PS4_iS9_PKS4_PKffii: ; @_ZN4vllm42fused_add_rms_norm_static_fp8_quant_kernelIfLi0EN3c1015Float8_e4m3fnuzEEENSt9enable_ifIXooeqT0_Li0Entsr12_typeConvertIT_EE6existsEvE4typeEPT1_PS4_iS9_PKS4_PKffii
; %bb.0:
	s_load_dword s20, s[4:5], 0x38
	s_load_dwordx2 s[12:13], s[4:5], 0x18
                                        ; implicit-def: $sgpr16
                                        ; implicit-def: $sgpr7
	s_waitcnt lgkmcnt(0)
	v_cmp_gt_i32_e64 s[0:1], s20, v0
	v_cmp_le_i32_e32 vcc, s20, v0
	s_and_saveexec_b64 s[2:3], vcc
	s_xor_b64 s[2:3], exec, s[2:3]
	s_cbranch_execz .LBB37_2
; %bb.1:
	s_load_dword s7, s[4:5], 0x4c
	s_mov_b32 s16, 0
	s_waitcnt lgkmcnt(0)
	s_and_b32 s7, s7, 0xffff
.LBB37_2:
	s_or_saveexec_b64 s[2:3], s[2:3]
	s_load_dwordx2 s[14:15], s[4:5], 0x0
	s_load_dwordx4 s[8:11], s[4:5], 0x20
	v_mov_b32_e32 v4, s16
	v_mov_b32_e32 v6, s7
	s_mul_i32 s21, s6, s20
	s_xor_b64 exec, exec, s[2:3]
	s_cbranch_execz .LBB37_6
; %bb.3:
	s_load_dword s7, s[4:5], 0x10
	s_load_dword s22, s[4:5], 0x4c
	s_load_dwordx2 s[16:17], s[4:5], 0x8
	s_mov_b64 s[18:19], 0
	v_mov_b32_e32 v3, 0
	s_waitcnt lgkmcnt(0)
	s_mul_i32 s7, s6, s7
	s_and_b32 s6, s22, 0xffff
	v_mov_b32_e32 v1, s17
	v_mov_b32_e32 v5, s13
	;; [unrolled: 1-line block ×4, first 2 shown]
.LBB37_4:                               ; =>This Inner Loop Header: Depth=1
	v_add_u32_e32 v2, s7, v6
	v_lshlrev_b64 v[8:9], 2, v[2:3]
	v_add_u32_e32 v2, s21, v6
	v_add_co_u32_e32 v8, vcc, s16, v8
	v_addc_co_u32_e32 v9, vcc, v1, v9, vcc
	v_lshlrev_b64 v[10:11], 2, v[2:3]
	global_load_dword v2, v[8:9], off
	v_add_co_u32_e32 v8, vcc, s12, v10
	v_addc_co_u32_e32 v9, vcc, v5, v11, vcc
	global_load_dword v7, v[8:9], off
	v_add_u32_e32 v6, s6, v6
	v_cmp_le_i32_e32 vcc, s20, v6
	s_or_b64 s[18:19], vcc, s[18:19]
	s_waitcnt vmcnt(0)
	v_add_f32_e32 v2, v2, v7
	v_fmac_f32_e32 v4, v2, v2
	global_store_dword v[8:9], v2, off
	s_andn2_b64 exec, exec, s[18:19]
	s_cbranch_execnz .LBB37_4
; %bb.5:
	s_or_b64 exec, exec, s[18:19]
	v_mov_b32_e32 v6, s6
.LBB37_6:
	s_or_b64 exec, exec, s[2:3]
	v_mbcnt_lo_u32_b32 v1, -1, 0
	v_mbcnt_hi_u32_b32 v1, -1, v1
	v_and_b32_e32 v2, 63, v1
	v_cmp_ne_u32_e32 vcc, 63, v2
	v_addc_co_u32_e32 v3, vcc, 0, v1, vcc
	v_lshlrev_b32_e32 v3, 2, v3
	ds_bpermute_b32 v3, v3, v4
	v_and_b32_e32 v5, 0x3c0, v0
	v_sub_u32_e64 v5, v6, v5 clamp
	v_add_u32_e32 v7, 1, v1
	v_cmp_lt_u32_e32 vcc, v7, v5
	s_waitcnt lgkmcnt(0)
	v_add_f32_e32 v3, v4, v3
	v_cndmask_b32_e32 v3, v4, v3, vcc
	v_cmp_gt_u32_e32 vcc, 62, v2
	v_cndmask_b32_e64 v4, 0, 1, vcc
	v_lshlrev_b32_e32 v4, 1, v4
	v_add_lshl_u32 v4, v4, v1, 2
	ds_bpermute_b32 v4, v4, v3
	v_add_u32_e32 v7, 2, v1
	v_cmp_lt_u32_e32 vcc, v7, v5
	v_add_u32_e32 v7, 4, v1
	s_waitcnt lgkmcnt(0)
	v_add_f32_e32 v4, v3, v4
	v_cndmask_b32_e32 v3, v3, v4, vcc
	v_cmp_gt_u32_e32 vcc, 60, v2
	v_cndmask_b32_e64 v4, 0, 1, vcc
	v_lshlrev_b32_e32 v4, 2, v4
	v_add_lshl_u32 v4, v4, v1, 2
	ds_bpermute_b32 v4, v4, v3
	v_cmp_lt_u32_e32 vcc, v7, v5
	v_add_u32_e32 v7, 8, v1
	s_waitcnt lgkmcnt(0)
	v_add_f32_e32 v4, v3, v4
	v_cndmask_b32_e32 v3, v3, v4, vcc
	v_cmp_gt_u32_e32 vcc, 56, v2
	v_cndmask_b32_e64 v4, 0, 1, vcc
	v_lshlrev_b32_e32 v4, 3, v4
	v_add_lshl_u32 v4, v4, v1, 2
	ds_bpermute_b32 v4, v4, v3
	;; [unrolled: 10-line block ×3, first 2 shown]
	v_cmp_lt_u32_e32 vcc, v7, v5
	s_waitcnt lgkmcnt(0)
	v_add_f32_e32 v4, v3, v4
	v_cndmask_b32_e32 v3, v3, v4, vcc
	v_cmp_gt_u32_e32 vcc, 32, v2
	v_cndmask_b32_e64 v2, 0, 1, vcc
	v_lshlrev_b32_e32 v2, 5, v2
	v_add_lshl_u32 v2, v2, v1, 2
	ds_bpermute_b32 v2, v2, v3
	v_add_u32_e32 v4, 32, v1
	v_cmp_lt_u32_e32 vcc, v4, v5
	s_waitcnt lgkmcnt(0)
	v_add_f32_e32 v2, v3, v2
	v_cndmask_b32_e32 v2, v3, v2, vcc
	v_cmp_eq_u32_e32 vcc, 0, v1
	s_and_saveexec_b64 s[2:3], vcc
	s_cbranch_execz .LBB37_8
; %bb.7:
	v_lshrrev_b32_e32 v3, 4, v0
	v_and_b32_e32 v3, 60, v3
	ds_write_b32 v3, v2
.LBB37_8:
	s_or_b64 exec, exec, s[2:3]
	v_cmp_gt_u32_e32 vcc, 16, v0
	s_waitcnt lgkmcnt(0)
	s_barrier
	s_and_saveexec_b64 s[6:7], vcc
	s_cbranch_execz .LBB37_10
; %bb.9:
	v_lshlrev_b32_e32 v2, 2, v1
	ds_read_b32 v2, v2
	v_and_b32_e32 v3, 15, v1
	v_cmp_ne_u32_e32 vcc, 15, v3
	v_addc_co_u32_e32 v4, vcc, 0, v1, vcc
	v_lshlrev_b32_e32 v4, 2, v4
	s_waitcnt lgkmcnt(0)
	ds_bpermute_b32 v4, v4, v2
	v_add_u32_e32 v5, 63, v6
	v_lshrrev_b32_e32 v5, 6, v5
	v_add_u32_e32 v7, 1, v3
	v_cmp_gt_u32_e64 s[2:3], 14, v3
	v_cmp_lt_u32_e32 vcc, v7, v5
	v_cndmask_b32_e64 v7, 0, 1, s[2:3]
	s_waitcnt lgkmcnt(0)
	v_add_f32_e32 v4, v2, v4
	v_lshlrev_b32_e32 v7, 1, v7
	v_cndmask_b32_e32 v4, v2, v4, vcc
	v_add_lshl_u32 v7, v7, v1, 2
	ds_bpermute_b32 v7, v7, v4
	v_add_u32_e32 v8, 2, v3
	v_cmp_lt_u32_e64 s[2:3], v8, v5
	v_add_u32_e32 v8, 4, v3
	s_waitcnt lgkmcnt(0)
	v_add_f32_e32 v7, v4, v7
	v_cndmask_b32_e64 v4, v4, v7, s[2:3]
	v_cmp_gt_u32_e64 s[2:3], 12, v3
	v_cndmask_b32_e64 v7, 0, 1, s[2:3]
	v_lshlrev_b32_e32 v7, 2, v7
	v_add_lshl_u32 v7, v7, v1, 2
	ds_bpermute_b32 v7, v7, v4
	v_cmp_lt_u32_e64 s[2:3], v8, v5
	s_waitcnt lgkmcnt(0)
	v_add_f32_e32 v7, v4, v7
	v_cndmask_b32_e64 v4, v4, v7, s[2:3]
	v_cmp_gt_u32_e64 s[2:3], 8, v3
	v_cndmask_b32_e64 v7, 0, 1, s[2:3]
	v_lshlrev_b32_e32 v7, 3, v7
	v_add_lshl_u32 v1, v7, v1, 2
	ds_bpermute_b32 v1, v1, v4
	v_add_u32_e32 v3, 8, v3
	v_cmp_lt_u32_e64 s[2:3], v3, v5
	s_waitcnt lgkmcnt(0)
	v_add_f32_e32 v1, v4, v1
	v_cndmask_b32_e64 v1, v4, v1, s[2:3]
	v_cndmask_b32_e32 v2, v2, v1, vcc
.LBB37_10:
	s_or_b64 exec, exec, s[6:7]
	v_cmp_eq_u32_e32 vcc, 0, v0
	s_and_saveexec_b64 s[2:3], vcc
	s_cbranch_execz .LBB37_12
; %bb.11:
	v_cvt_f32_i32_e32 v1, s20
	s_load_dword s6, s[4:5], 0x30
	v_div_scale_f32 v3, s[4:5], v1, v1, v2
	v_rcp_f32_e32 v4, v3
	v_div_scale_f32 v5, vcc, v2, v1, v2
	s_mov_b32 s4, 0x800000
	v_fma_f32 v7, -v3, v4, 1.0
	v_fmac_f32_e32 v4, v7, v4
	v_mul_f32_e32 v7, v5, v4
	v_fma_f32 v8, -v3, v7, v5
	v_fmac_f32_e32 v7, v8, v4
	v_fma_f32 v3, -v3, v7, v5
	v_div_fmas_f32 v3, v3, v4, v7
	v_div_fixup_f32 v1, v3, v1, v2
	s_waitcnt lgkmcnt(0)
	v_add_f32_e32 v1, s6, v1
	v_mul_f32_e32 v2, 0x4b800000, v1
	v_cmp_gt_f32_e32 vcc, s4, v1
	v_cndmask_b32_e32 v1, v1, v2, vcc
	v_rsq_f32_e32 v1, v1
	v_mul_f32_e32 v2, 0x45800000, v1
	v_cndmask_b32_e32 v1, v1, v2, vcc
	v_mov_b32_e32 v2, 0
	ds_write_b32 v2, v1 offset:64
.LBB37_12:
	s_or_b64 exec, exec, s[2:3]
	s_waitcnt lgkmcnt(0)
	s_barrier
	s_and_saveexec_b64 s[2:3], s[0:1]
	s_cbranch_execz .LBB37_25
; %bb.13:
	s_load_dword s4, s[10:11], 0x0
	v_mov_b32_e32 v3, 0
	ds_read_b32 v7, v3 offset:64
	s_mov_b64 s[2:3], 0
	v_mov_b32_e32 v9, s13
	s_waitcnt lgkmcnt(0)
	v_div_scale_f32 v1, s[0:1], s4, s4, 1.0
	v_rcp_f32_e32 v2, v1
	v_div_scale_f32 v4, vcc, 1.0, s4, 1.0
	v_mov_b32_e32 v10, s9
	v_fma_f32 v5, -v1, v2, 1.0
	v_fmac_f32_e32 v2, v5, v2
	v_mul_f32_e32 v5, v4, v2
	v_fma_f32 v8, -v1, v5, v4
	v_fmac_f32_e32 v5, v8, v2
	v_fma_f32 v1, -v1, v5, v4
	v_div_fmas_f32 v1, v1, v2, v5
	v_div_fixup_f32 v8, v1, s4, 1.0
	s_movk_i32 s9, 0x7f
	s_mov_b64 s[4:5], 0x7f800000
	s_mov_b64 s[6:7], 0x43700001
	s_movk_i32 s13, 0x78
	s_movk_i32 s22, 0x80
	v_mov_b32_e32 v11, 0x77
	v_mov_b32_e32 v12, 0xffffff8a
	;; [unrolled: 1-line block ×3, first 2 shown]
	s_branch .LBB37_18
.LBB37_14:                              ;   in Loop: Header=BB37_18 Depth=1
	s_or_b64 exec, exec, s[0:1]
	v_lshrrev_b64 v[4:5], 20, v[4:5]
	v_cmp_gt_i32_e32 vcc, 16, v14
	v_and_b32_sdwa v1, v1, s22 dst_sel:DWORD dst_unused:UNUSED_PAD src0_sel:BYTE_3 src1_sel:DWORD
	v_min_i32_e32 v15, 15, v14
	v_cndmask_b32_e32 v5, 0, v5, vcc
	v_cndmask_b32_e32 v4, 7, v4, vcc
	v_cmp_eq_u32_e32 vcc, 0, v14
	v_cmp_eq_u64_e64 s[0:1], 0, v[4:5]
	v_lshl_or_b32 v1, v15, 3, v1
	v_and_or_b32 v1, v4, 7, v1
	s_and_b64 s[0:1], vcc, s[0:1]
	v_cndmask_b32_e64 v4, v1, 0, s[0:1]
.LBB37_15:                              ;   in Loop: Header=BB37_18 Depth=1
	s_or_b64 exec, exec, s[18:19]
.LBB37_16:                              ;   in Loop: Header=BB37_18 Depth=1
	s_andn2_saveexec_b64 s[0:1], s[16:17]
	s_or_b64 exec, exec, s[0:1]
.LBB37_17:                              ;   in Loop: Header=BB37_18 Depth=1
	s_andn2_saveexec_b64 s[0:1], s[10:11]
	s_or_b64 exec, exec, s[0:1]
	v_add_co_u32_e32 v14, vcc, s14, v2
	v_addc_co_u32_e32 v15, vcc, 0, v13, vcc
	v_add_u32_e32 v0, v0, v6
	v_cmp_le_i32_e32 vcc, s20, v0
	s_or_b64 s[2:3], vcc, s[2:3]
	global_store_byte v[14:15], v4, off
	s_andn2_b64 exec, exec, s[2:3]
	s_cbranch_execz .LBB37_25
.LBB37_18:                              ; =>This Inner Loop Header: Depth=1
	v_add_u32_e32 v2, s21, v0
	v_lshlrev_b64 v[4:5], 2, v[2:3]
	v_add_co_u32_e32 v4, vcc, s12, v4
	v_addc_co_u32_e32 v5, vcc, v9, v5, vcc
	v_ashrrev_i32_e32 v1, 31, v0
	global_load_dword v14, v[4:5], off
	v_lshlrev_b64 v[4:5], 2, v[0:1]
	v_add_co_u32_e32 v4, vcc, s8, v4
	v_addc_co_u32_e32 v5, vcc, v10, v5, vcc
	global_load_dword v1, v[4:5], off
	v_mov_b32_e32 v15, v3
	s_waitcnt vmcnt(1)
	v_mul_f32_e32 v4, v14, v7
	s_waitcnt vmcnt(0)
	v_mul_f32_e32 v1, v4, v1
	v_mul_f32_e32 v1, v8, v1
	v_min_f32_e32 v1, 0x43600000, v1
	v_max_f32_e32 v1, 0xc3600000, v1
	v_and_b32_e32 v14, 0x7f800000, v1
	v_or_b32_sdwa v4, v1, s9 dst_sel:DWORD dst_unused:UNUSED_PAD src0_sel:BYTE_3 src1_sel:DWORD
	v_cmp_ne_u64_e32 vcc, s[4:5], v[14:15]
	s_and_saveexec_b64 s[0:1], vcc
	s_xor_b64 s[10:11], exec, s[0:1]
	s_cbranch_execz .LBB37_17
; %bb.19:                               ;   in Loop: Header=BB37_18 Depth=1
	v_and_b32_e32 v14, 0x7fffffff, v1
	v_mov_b32_e32 v15, v3
	v_cmp_gt_u64_e32 vcc, s[6:7], v[14:15]
	s_and_saveexec_b64 s[0:1], vcc
	s_xor_b64 s[16:17], exec, s[0:1]
	s_cbranch_execz .LBB37_16
; %bb.20:                               ;   in Loop: Header=BB37_18 Depth=1
	v_cmp_ne_u32_e32 vcc, 0, v1
	v_mov_b32_e32 v4, 0
	s_and_saveexec_b64 s[18:19], vcc
	s_cbranch_execz .LBB37_15
; %bb.21:                               ;   in Loop: Header=BB37_18 Depth=1
	v_bfe_u32 v5, v1, 23, 8
	v_sub_u32_e64 v14, s13, v5 clamp
	v_cmp_eq_u32_e32 vcc, 0, v5
	v_and_b32_e32 v4, 0x7fffff, v1
	v_cndmask_b32_e32 v19, v14, v11, vcc
	v_or_b32_e32 v15, 0x800000, v4
	v_add_u32_e32 v14, 20, v19
	v_cndmask_b32_e32 v4, v15, v4, vcc
	v_lshlrev_b64 v[14:15], v14, -1
	v_add_u32_e32 v18, 0xffffff89, v5
	v_mov_b32_e32 v5, v3
	v_not_b32_e32 v14, v14
	v_add_u32_e32 v16, 19, v19
	v_and_b32_e32 v14, v4, v14
	v_mov_b32_e32 v15, v3
	v_lshlrev_b64 v[16:17], v16, 1
	v_lshrrev_b64 v[4:5], v19, v[4:5]
	v_cmp_eq_u64_e64 s[0:1], v[14:15], v[16:17]
	v_cndmask_b32_e32 v14, v18, v12, vcc
	v_lshrrev_b32_e32 v15, 23, v4
	v_add3_u32 v15, v14, v19, v15
	v_and_b32_e32 v18, 0x100000, v4
	v_mov_b32_e32 v19, v3
	v_cmp_eq_u64_e32 vcc, 0, v[18:19]
	s_and_b64 vcc, vcc, s[0:1]
	v_subbrev_co_u32_e32 v14, vcc, 0, v4, vcc
	v_and_b32_e32 v14, 0xfffff, v14
	v_add_co_u32_e32 v4, vcc, v14, v4
	v_add_u32_e32 v16, -1, v15
	v_addc_co_u32_e32 v5, vcc, 0, v5, vcc
	v_cmp_ne_u32_e32 vcc, 0, v16
                                        ; implicit-def: $vgpr14
	s_and_saveexec_b64 s[0:1], vcc
	s_xor_b64 s[0:1], exec, s[0:1]
; %bb.22:                               ;   in Loop: Header=BB37_18 Depth=1
	v_and_b32_e32 v18, 0x1000000, v4
	v_mov_b32_e32 v19, v3
	v_cmp_eq_u64_e32 vcc, 0, v[18:19]
	v_cndmask_b32_e32 v14, v15, v16, vcc
	v_bfe_u32 v15, v4, 24, 1
	v_lshrrev_b64 v[4:5], v15, v[4:5]
; %bb.23:                               ;   in Loop: Header=BB37_18 Depth=1
	s_andn2_saveexec_b64 s[0:1], s[0:1]
	s_cbranch_execz .LBB37_14
; %bb.24:                               ;   in Loop: Header=BB37_18 Depth=1
	v_bfe_u32 v14, v4, 23, 1
	s_branch .LBB37_14
.LBB37_25:
	s_endpgm
	.section	.rodata,"a",@progbits
	.p2align	6, 0x0
	.amdhsa_kernel _ZN4vllm42fused_add_rms_norm_static_fp8_quant_kernelIfLi0EN3c1015Float8_e4m3fnuzEEENSt9enable_ifIXooeqT0_Li0Entsr12_typeConvertIT_EE6existsEvE4typeEPT1_PS4_iS9_PKS4_PKffii
		.amdhsa_group_segment_fixed_size 68
		.amdhsa_private_segment_fixed_size 0
		.amdhsa_kernarg_size 320
		.amdhsa_user_sgpr_count 6
		.amdhsa_user_sgpr_private_segment_buffer 1
		.amdhsa_user_sgpr_dispatch_ptr 0
		.amdhsa_user_sgpr_queue_ptr 0
		.amdhsa_user_sgpr_kernarg_segment_ptr 1
		.amdhsa_user_sgpr_dispatch_id 0
		.amdhsa_user_sgpr_flat_scratch_init 0
		.amdhsa_user_sgpr_kernarg_preload_length 0
		.amdhsa_user_sgpr_kernarg_preload_offset 0
		.amdhsa_user_sgpr_private_segment_size 0
		.amdhsa_uses_dynamic_stack 0
		.amdhsa_system_sgpr_private_segment_wavefront_offset 0
		.amdhsa_system_sgpr_workgroup_id_x 1
		.amdhsa_system_sgpr_workgroup_id_y 0
		.amdhsa_system_sgpr_workgroup_id_z 0
		.amdhsa_system_sgpr_workgroup_info 0
		.amdhsa_system_vgpr_workitem_id 0
		.amdhsa_next_free_vgpr 20
		.amdhsa_next_free_sgpr 23
		.amdhsa_accum_offset 20
		.amdhsa_reserve_vcc 1
		.amdhsa_reserve_flat_scratch 0
		.amdhsa_float_round_mode_32 0
		.amdhsa_float_round_mode_16_64 0
		.amdhsa_float_denorm_mode_32 3
		.amdhsa_float_denorm_mode_16_64 3
		.amdhsa_dx10_clamp 1
		.amdhsa_ieee_mode 1
		.amdhsa_fp16_overflow 0
		.amdhsa_tg_split 0
		.amdhsa_exception_fp_ieee_invalid_op 0
		.amdhsa_exception_fp_denorm_src 0
		.amdhsa_exception_fp_ieee_div_zero 0
		.amdhsa_exception_fp_ieee_overflow 0
		.amdhsa_exception_fp_ieee_underflow 0
		.amdhsa_exception_fp_ieee_inexact 0
		.amdhsa_exception_int_div_zero 0
	.end_amdhsa_kernel
	.section	.text._ZN4vllm42fused_add_rms_norm_static_fp8_quant_kernelIfLi0EN3c1015Float8_e4m3fnuzEEENSt9enable_ifIXooeqT0_Li0Entsr12_typeConvertIT_EE6existsEvE4typeEPT1_PS4_iS9_PKS4_PKffii,"axG",@progbits,_ZN4vllm42fused_add_rms_norm_static_fp8_quant_kernelIfLi0EN3c1015Float8_e4m3fnuzEEENSt9enable_ifIXooeqT0_Li0Entsr12_typeConvertIT_EE6existsEvE4typeEPT1_PS4_iS9_PKS4_PKffii,comdat
.Lfunc_end37:
	.size	_ZN4vllm42fused_add_rms_norm_static_fp8_quant_kernelIfLi0EN3c1015Float8_e4m3fnuzEEENSt9enable_ifIXooeqT0_Li0Entsr12_typeConvertIT_EE6existsEvE4typeEPT1_PS4_iS9_PKS4_PKffii, .Lfunc_end37-_ZN4vllm42fused_add_rms_norm_static_fp8_quant_kernelIfLi0EN3c1015Float8_e4m3fnuzEEENSt9enable_ifIXooeqT0_Li0Entsr12_typeConvertIT_EE6existsEvE4typeEPT1_PS4_iS9_PKS4_PKffii
                                        ; -- End function
	.section	.AMDGPU.csdata,"",@progbits
; Kernel info:
; codeLenInByte = 1816
; NumSgprs: 27
; NumVgprs: 20
; NumAgprs: 0
; TotalNumVgprs: 20
; ScratchSize: 0
; MemoryBound: 0
; FloatMode: 240
; IeeeMode: 1
; LDSByteSize: 68 bytes/workgroup (compile time only)
; SGPRBlocks: 3
; VGPRBlocks: 2
; NumSGPRsForWavesPerEU: 27
; NumVGPRsForWavesPerEU: 20
; AccumOffset: 20
; Occupancy: 8
; WaveLimiterHint : 0
; COMPUTE_PGM_RSRC2:SCRATCH_EN: 0
; COMPUTE_PGM_RSRC2:USER_SGPR: 6
; COMPUTE_PGM_RSRC2:TRAP_HANDLER: 0
; COMPUTE_PGM_RSRC2:TGID_X_EN: 1
; COMPUTE_PGM_RSRC2:TGID_Y_EN: 0
; COMPUTE_PGM_RSRC2:TGID_Z_EN: 0
; COMPUTE_PGM_RSRC2:TIDIG_COMP_CNT: 0
; COMPUTE_PGM_RSRC3_GFX90A:ACCUM_OFFSET: 4
; COMPUTE_PGM_RSRC3_GFX90A:TG_SPLIT: 0
	.section	.text._ZN4vllm42fused_add_rms_norm_static_fp8_quant_kernelIN3c104HalfELi0ENS1_13Float8_e4m3fnEEENSt9enable_ifIXooeqT0_Li0Entsr12_typeConvertIT_EE6existsEvE4typeEPT1_PS5_iSA_PKS5_PKffii,"axG",@progbits,_ZN4vllm42fused_add_rms_norm_static_fp8_quant_kernelIN3c104HalfELi0ENS1_13Float8_e4m3fnEEENSt9enable_ifIXooeqT0_Li0Entsr12_typeConvertIT_EE6existsEvE4typeEPT1_PS5_iSA_PKS5_PKffii,comdat
	.protected	_ZN4vllm42fused_add_rms_norm_static_fp8_quant_kernelIN3c104HalfELi0ENS1_13Float8_e4m3fnEEENSt9enable_ifIXooeqT0_Li0Entsr12_typeConvertIT_EE6existsEvE4typeEPT1_PS5_iSA_PKS5_PKffii ; -- Begin function _ZN4vllm42fused_add_rms_norm_static_fp8_quant_kernelIN3c104HalfELi0ENS1_13Float8_e4m3fnEEENSt9enable_ifIXooeqT0_Li0Entsr12_typeConvertIT_EE6existsEvE4typeEPT1_PS5_iSA_PKS5_PKffii
	.globl	_ZN4vllm42fused_add_rms_norm_static_fp8_quant_kernelIN3c104HalfELi0ENS1_13Float8_e4m3fnEEENSt9enable_ifIXooeqT0_Li0Entsr12_typeConvertIT_EE6existsEvE4typeEPT1_PS5_iSA_PKS5_PKffii
	.p2align	8
	.type	_ZN4vllm42fused_add_rms_norm_static_fp8_quant_kernelIN3c104HalfELi0ENS1_13Float8_e4m3fnEEENSt9enable_ifIXooeqT0_Li0Entsr12_typeConvertIT_EE6existsEvE4typeEPT1_PS5_iSA_PKS5_PKffii,@function
_ZN4vllm42fused_add_rms_norm_static_fp8_quant_kernelIN3c104HalfELi0ENS1_13Float8_e4m3fnEEENSt9enable_ifIXooeqT0_Li0Entsr12_typeConvertIT_EE6existsEvE4typeEPT1_PS5_iSA_PKS5_PKffii: ; @_ZN4vllm42fused_add_rms_norm_static_fp8_quant_kernelIN3c104HalfELi0ENS1_13Float8_e4m3fnEEENSt9enable_ifIXooeqT0_Li0Entsr12_typeConvertIT_EE6existsEvE4typeEPT1_PS5_iSA_PKS5_PKffii
; %bb.0:
	s_load_dword s20, s[4:5], 0x38
	s_load_dwordx2 s[12:13], s[4:5], 0x18
                                        ; implicit-def: $sgpr16
                                        ; implicit-def: $sgpr7
	s_waitcnt lgkmcnt(0)
	v_cmp_gt_i32_e64 s[0:1], s20, v0
	v_cmp_le_i32_e32 vcc, s20, v0
	s_and_saveexec_b64 s[2:3], vcc
	s_xor_b64 s[2:3], exec, s[2:3]
	s_cbranch_execz .LBB38_2
; %bb.1:
	s_load_dword s7, s[4:5], 0x4c
	s_mov_b32 s16, 0
	s_waitcnt lgkmcnt(0)
	s_and_b32 s7, s7, 0xffff
.LBB38_2:
	s_or_saveexec_b64 s[2:3], s[2:3]
	s_load_dwordx2 s[14:15], s[4:5], 0x0
	s_load_dwordx4 s[8:11], s[4:5], 0x20
	v_mov_b32_e32 v4, s16
	v_mov_b32_e32 v6, s7
	s_mul_i32 s21, s6, s20
	s_xor_b64 exec, exec, s[2:3]
	s_cbranch_execz .LBB38_6
; %bb.3:
	s_load_dword s7, s[4:5], 0x10
	s_load_dword s22, s[4:5], 0x4c
	s_load_dwordx2 s[16:17], s[4:5], 0x8
	s_mov_b64 s[18:19], 0
	v_mov_b32_e32 v3, 0
	s_waitcnt lgkmcnt(0)
	s_mul_i32 s7, s6, s7
	s_and_b32 s6, s22, 0xffff
	v_mov_b32_e32 v1, s17
	v_mov_b32_e32 v5, s13
	v_mov_b32_e32 v4, 0
	v_mov_b32_e32 v6, v0
.LBB38_4:                               ; =>This Inner Loop Header: Depth=1
	v_add_u32_e32 v2, s7, v6
	v_lshlrev_b64 v[8:9], 1, v[2:3]
	v_add_u32_e32 v2, s21, v6
	v_add_co_u32_e32 v8, vcc, s16, v8
	v_addc_co_u32_e32 v9, vcc, v1, v9, vcc
	v_lshlrev_b64 v[10:11], 1, v[2:3]
	global_load_ushort v2, v[8:9], off
	v_add_co_u32_e32 v8, vcc, s12, v10
	v_addc_co_u32_e32 v9, vcc, v5, v11, vcc
	global_load_ushort v7, v[8:9], off
	v_add_u32_e32 v6, s6, v6
	v_cmp_le_i32_e32 vcc, s20, v6
	s_or_b64 s[18:19], vcc, s[18:19]
	s_waitcnt vmcnt(0)
	v_add_f16_e32 v2, v2, v7
	v_fma_mix_f32 v4, v2, v2, v4 op_sel_hi:[1,1,0]
	global_store_short v[8:9], v2, off
	s_andn2_b64 exec, exec, s[18:19]
	s_cbranch_execnz .LBB38_4
; %bb.5:
	s_or_b64 exec, exec, s[18:19]
	v_mov_b32_e32 v6, s6
.LBB38_6:
	s_or_b64 exec, exec, s[2:3]
	v_mbcnt_lo_u32_b32 v1, -1, 0
	v_mbcnt_hi_u32_b32 v1, -1, v1
	v_and_b32_e32 v2, 63, v1
	v_cmp_ne_u32_e32 vcc, 63, v2
	v_addc_co_u32_e32 v3, vcc, 0, v1, vcc
	v_lshlrev_b32_e32 v3, 2, v3
	ds_bpermute_b32 v3, v3, v4
	v_and_b32_e32 v5, 0x3c0, v0
	v_sub_u32_e64 v5, v6, v5 clamp
	v_add_u32_e32 v7, 1, v1
	v_cmp_lt_u32_e32 vcc, v7, v5
	s_waitcnt lgkmcnt(0)
	v_add_f32_e32 v3, v4, v3
	v_cndmask_b32_e32 v3, v4, v3, vcc
	v_cmp_gt_u32_e32 vcc, 62, v2
	v_cndmask_b32_e64 v4, 0, 1, vcc
	v_lshlrev_b32_e32 v4, 1, v4
	v_add_lshl_u32 v4, v4, v1, 2
	ds_bpermute_b32 v4, v4, v3
	v_add_u32_e32 v7, 2, v1
	v_cmp_lt_u32_e32 vcc, v7, v5
	v_add_u32_e32 v7, 4, v1
	s_waitcnt lgkmcnt(0)
	v_add_f32_e32 v4, v3, v4
	v_cndmask_b32_e32 v3, v3, v4, vcc
	v_cmp_gt_u32_e32 vcc, 60, v2
	v_cndmask_b32_e64 v4, 0, 1, vcc
	v_lshlrev_b32_e32 v4, 2, v4
	v_add_lshl_u32 v4, v4, v1, 2
	ds_bpermute_b32 v4, v4, v3
	v_cmp_lt_u32_e32 vcc, v7, v5
	v_add_u32_e32 v7, 8, v1
	s_waitcnt lgkmcnt(0)
	v_add_f32_e32 v4, v3, v4
	v_cndmask_b32_e32 v3, v3, v4, vcc
	v_cmp_gt_u32_e32 vcc, 56, v2
	v_cndmask_b32_e64 v4, 0, 1, vcc
	v_lshlrev_b32_e32 v4, 3, v4
	v_add_lshl_u32 v4, v4, v1, 2
	ds_bpermute_b32 v4, v4, v3
	;; [unrolled: 10-line block ×3, first 2 shown]
	v_cmp_lt_u32_e32 vcc, v7, v5
	s_waitcnt lgkmcnt(0)
	v_add_f32_e32 v4, v3, v4
	v_cndmask_b32_e32 v3, v3, v4, vcc
	v_cmp_gt_u32_e32 vcc, 32, v2
	v_cndmask_b32_e64 v2, 0, 1, vcc
	v_lshlrev_b32_e32 v2, 5, v2
	v_add_lshl_u32 v2, v2, v1, 2
	ds_bpermute_b32 v2, v2, v3
	v_add_u32_e32 v4, 32, v1
	v_cmp_lt_u32_e32 vcc, v4, v5
	s_waitcnt lgkmcnt(0)
	v_add_f32_e32 v2, v3, v2
	v_cndmask_b32_e32 v2, v3, v2, vcc
	v_cmp_eq_u32_e32 vcc, 0, v1
	s_and_saveexec_b64 s[2:3], vcc
	s_cbranch_execz .LBB38_8
; %bb.7:
	v_lshrrev_b32_e32 v3, 4, v0
	v_and_b32_e32 v3, 60, v3
	ds_write_b32 v3, v2
.LBB38_8:
	s_or_b64 exec, exec, s[2:3]
	v_cmp_gt_u32_e32 vcc, 16, v0
	s_waitcnt lgkmcnt(0)
	s_barrier
	s_and_saveexec_b64 s[6:7], vcc
	s_cbranch_execz .LBB38_10
; %bb.9:
	v_lshlrev_b32_e32 v2, 2, v1
	ds_read_b32 v2, v2
	v_and_b32_e32 v3, 15, v1
	v_cmp_ne_u32_e32 vcc, 15, v3
	v_addc_co_u32_e32 v4, vcc, 0, v1, vcc
	v_lshlrev_b32_e32 v4, 2, v4
	s_waitcnt lgkmcnt(0)
	ds_bpermute_b32 v4, v4, v2
	v_add_u32_e32 v5, 63, v6
	v_lshrrev_b32_e32 v5, 6, v5
	v_add_u32_e32 v7, 1, v3
	v_cmp_gt_u32_e64 s[2:3], 14, v3
	v_cmp_lt_u32_e32 vcc, v7, v5
	v_cndmask_b32_e64 v7, 0, 1, s[2:3]
	s_waitcnt lgkmcnt(0)
	v_add_f32_e32 v4, v2, v4
	v_lshlrev_b32_e32 v7, 1, v7
	v_cndmask_b32_e32 v4, v2, v4, vcc
	v_add_lshl_u32 v7, v7, v1, 2
	ds_bpermute_b32 v7, v7, v4
	v_add_u32_e32 v8, 2, v3
	v_cmp_lt_u32_e64 s[2:3], v8, v5
	v_add_u32_e32 v8, 4, v3
	s_waitcnt lgkmcnt(0)
	v_add_f32_e32 v7, v4, v7
	v_cndmask_b32_e64 v4, v4, v7, s[2:3]
	v_cmp_gt_u32_e64 s[2:3], 12, v3
	v_cndmask_b32_e64 v7, 0, 1, s[2:3]
	v_lshlrev_b32_e32 v7, 2, v7
	v_add_lshl_u32 v7, v7, v1, 2
	ds_bpermute_b32 v7, v7, v4
	v_cmp_lt_u32_e64 s[2:3], v8, v5
	s_waitcnt lgkmcnt(0)
	v_add_f32_e32 v7, v4, v7
	v_cndmask_b32_e64 v4, v4, v7, s[2:3]
	v_cmp_gt_u32_e64 s[2:3], 8, v3
	v_cndmask_b32_e64 v7, 0, 1, s[2:3]
	v_lshlrev_b32_e32 v7, 3, v7
	v_add_lshl_u32 v1, v7, v1, 2
	ds_bpermute_b32 v1, v1, v4
	v_add_u32_e32 v3, 8, v3
	v_cmp_lt_u32_e64 s[2:3], v3, v5
	s_waitcnt lgkmcnt(0)
	v_add_f32_e32 v1, v4, v1
	v_cndmask_b32_e64 v1, v4, v1, s[2:3]
	v_cndmask_b32_e32 v2, v2, v1, vcc
.LBB38_10:
	s_or_b64 exec, exec, s[6:7]
	v_cmp_eq_u32_e32 vcc, 0, v0
	s_and_saveexec_b64 s[2:3], vcc
	s_cbranch_execz .LBB38_12
; %bb.11:
	v_cvt_f32_i32_e32 v1, s20
	s_load_dword s6, s[4:5], 0x30
	v_div_scale_f32 v3, s[4:5], v1, v1, v2
	v_rcp_f32_e32 v4, v3
	v_div_scale_f32 v5, vcc, v2, v1, v2
	s_mov_b32 s4, 0x800000
	v_fma_f32 v7, -v3, v4, 1.0
	v_fmac_f32_e32 v4, v7, v4
	v_mul_f32_e32 v7, v5, v4
	v_fma_f32 v8, -v3, v7, v5
	v_fmac_f32_e32 v7, v8, v4
	v_fma_f32 v3, -v3, v7, v5
	v_div_fmas_f32 v3, v3, v4, v7
	v_div_fixup_f32 v1, v3, v1, v2
	s_waitcnt lgkmcnt(0)
	v_add_f32_e32 v1, s6, v1
	v_mul_f32_e32 v2, 0x4b800000, v1
	v_cmp_gt_f32_e32 vcc, s4, v1
	v_cndmask_b32_e32 v1, v1, v2, vcc
	v_rsq_f32_e32 v1, v1
	v_mul_f32_e32 v2, 0x45800000, v1
	v_cndmask_b32_e32 v1, v1, v2, vcc
	v_mov_b32_e32 v2, 0
	ds_write_b32 v2, v1 offset:64
.LBB38_12:
	s_or_b64 exec, exec, s[2:3]
	s_waitcnt lgkmcnt(0)
	s_barrier
	s_and_saveexec_b64 s[2:3], s[0:1]
	s_cbranch_execz .LBB38_31
; %bb.13:
	s_load_dword s4, s[10:11], 0x0
	v_mov_b32_e32 v3, 0
	ds_read_b32 v7, v3 offset:64
	s_mov_b64 s[2:3], 0
	v_mov_b32_e32 v9, s13
	s_waitcnt lgkmcnt(0)
	v_div_scale_f32 v1, s[0:1], s4, s4, 1.0
	v_rcp_f32_e32 v2, v1
	v_div_scale_f32 v4, vcc, 1.0, s4, 1.0
	v_mov_b32_e32 v10, s9
	v_fma_f32 v5, -v1, v2, 1.0
	v_fmac_f32_e32 v2, v5, v2
	v_mul_f32_e32 v5, v4, v2
	v_fma_f32 v8, -v1, v5, v4
	v_fmac_f32_e32 v5, v8, v2
	v_fma_f32 v1, -v1, v5, v4
	v_div_fmas_f32 v1, v1, v2, v5
	v_div_fixup_f32 v8, v1, s4, 1.0
	s_movk_i32 s9, 0x80
	s_mov_b64 s[4:5], 0x7f800000
	s_mov_b64 s[6:7], 0x43e00001
	s_movk_i32 s13, 0x79
	s_movk_i32 s22, 0x7f
	v_mov_b32_e32 v11, 0x78
	v_mov_b32_e32 v12, 0xffffff89
	s_branch .LBB38_15
.LBB38_14:                              ;   in Loop: Header=BB38_15 Depth=1
	s_or_b64 exec, exec, s[0:1]
	v_mov_b32_e32 v1, s15
	v_add_co_u32_e32 v4, vcc, s14, v2
	v_addc_co_u32_e32 v5, vcc, 0, v1, vcc
	v_add_u32_e32 v0, v0, v6
	v_cmp_le_i32_e32 vcc, s20, v0
	s_or_b64 s[2:3], vcc, s[2:3]
	global_store_byte v[4:5], v13, off
	s_andn2_b64 exec, exec, s[2:3]
	s_cbranch_execz .LBB38_31
.LBB38_15:                              ; =>This Inner Loop Header: Depth=1
	v_add_u32_e32 v2, s21, v0
	v_lshlrev_b64 v[4:5], 1, v[2:3]
	v_add_co_u32_e32 v4, vcc, s12, v4
	v_addc_co_u32_e32 v5, vcc, v9, v5, vcc
	v_ashrrev_i32_e32 v1, 31, v0
	global_load_ushort v13, v[4:5], off
	v_lshlrev_b64 v[4:5], 1, v[0:1]
	v_add_co_u32_e32 v4, vcc, s8, v4
	v_addc_co_u32_e32 v5, vcc, v10, v5, vcc
	global_load_ushort v1, v[4:5], off
	v_mov_b32_e32 v17, v3
	v_mov_b32_e32 v5, v3
	s_waitcnt vmcnt(1)
	v_fma_mixlo_f16 v4, v7, v13, 0 op_sel_hi:[0,1,0]
	s_waitcnt vmcnt(0)
	v_mul_f16_e32 v1, v1, v4
	v_cvt_f32_f16_e32 v1, v1
	v_mul_f32_e32 v1, v8, v1
	v_min_f32_e32 v1, 0x43e00000, v1
	v_max_f32_e32 v14, 0xc3e00000, v1
	v_and_b32_sdwa v1, v14, s9 dst_sel:DWORD dst_unused:UNUSED_PAD src0_sel:BYTE_3 src1_sel:DWORD
	v_and_b32_e32 v16, 0x7f800000, v14
	v_and_b32_e32 v4, 0x7fffff, v14
	v_or_b32_e32 v13, 0x7e, v1
	v_cmp_ne_u64_e32 vcc, s[4:5], v[16:17]
	s_and_saveexec_b64 s[0:1], vcc
	s_xor_b64 s[10:11], exec, s[0:1]
	s_cbranch_execz .LBB38_29
; %bb.16:                               ;   in Loop: Header=BB38_15 Depth=1
	v_and_b32_e32 v16, 0x7fffffff, v14
	v_mov_b32_e32 v17, v3
	v_cmp_gt_u64_e32 vcc, s[6:7], v[16:17]
	s_and_saveexec_b64 s[0:1], vcc
	s_xor_b64 s[16:17], exec, s[0:1]
	s_cbranch_execz .LBB38_28
; %bb.17:                               ;   in Loop: Header=BB38_15 Depth=1
	v_cmp_ne_u32_e32 vcc, 0, v14
	v_mov_b32_e32 v13, 0
	s_and_saveexec_b64 s[18:19], vcc
	s_cbranch_execz .LBB38_27
; %bb.18:                               ;   in Loop: Header=BB38_15 Depth=1
	v_bfe_u32 v13, v14, 23, 8
	v_sub_u32_e64 v14, s13, v13 clamp
	v_cmp_eq_u32_e32 vcc, 0, v13
	v_add_u32_e32 v18, 0xffffff88, v13
	v_cndmask_b32_e32 v13, v14, v11, vcc
	v_or_b32_e32 v15, 0x800000, v4
	v_add_u32_e32 v14, 20, v13
	v_cndmask_b32_e32 v4, v15, v4, vcc
	v_lshlrev_b64 v[14:15], v14, -1
	v_not_b32_e32 v15, v15
	v_not_b32_e32 v14, v14
	v_add_u32_e32 v16, 19, v13
	v_and_b32_e32 v15, 0, v15
	v_and_b32_e32 v14, v4, v14
	v_lshlrev_b64 v[16:17], v16, 1
	v_lshrrev_b64 v[4:5], v13, v[4:5]
	v_cmp_eq_u64_e64 s[0:1], v[14:15], v[16:17]
	v_and_b32_e32 v16, 0x100000, v4
	v_mov_b32_e32 v17, v3
	v_cndmask_b32_e32 v14, v18, v12, vcc
	v_cmp_eq_u64_e32 vcc, 0, v[16:17]
	v_lshrrev_b32_e32 v15, 23, v4
	s_and_b64 vcc, vcc, s[0:1]
	v_add3_u32 v13, v14, v13, v15
	v_subbrev_co_u32_e32 v14, vcc, 0, v4, vcc
	v_and_b32_e32 v14, 0xfffff, v14
	v_add_co_u32_e32 v4, vcc, v14, v4
	v_add_u32_e32 v15, -1, v13
	v_addc_co_u32_e32 v5, vcc, 0, v5, vcc
	v_cmp_ne_u32_e32 vcc, 0, v15
                                        ; implicit-def: $vgpr14
	s_and_saveexec_b64 s[0:1], vcc
	s_xor_b64 s[0:1], exec, s[0:1]
; %bb.19:                               ;   in Loop: Header=BB38_15 Depth=1
	v_and_b32_e32 v16, 0x1000000, v4
	v_mov_b32_e32 v17, v3
	v_cmp_eq_u64_e32 vcc, 0, v[16:17]
	v_cndmask_b32_e32 v14, v13, v15, vcc
	v_bfe_u32 v13, v4, 24, 1
	v_lshrrev_b64 v[4:5], v13, v[4:5]
; %bb.20:                               ;   in Loop: Header=BB38_15 Depth=1
	s_andn2_saveexec_b64 s[0:1], s[0:1]
; %bb.21:                               ;   in Loop: Header=BB38_15 Depth=1
	v_bfe_u32 v14, v4, 23, 1
; %bb.22:                               ;   in Loop: Header=BB38_15 Depth=1
	s_or_b64 exec, exec, s[0:1]
	v_lshrrev_b64 v[4:5], 20, v[4:5]
	v_cmp_gt_i32_e32 vcc, 16, v14
	v_cndmask_b32_e32 v5, 0, v5, vcc
	v_cndmask_b32_e32 v4, 7, v4, vcc
	v_cmp_ne_u32_e32 vcc, 0, v14
	v_cmp_ne_u64_e64 s[0:1], 0, v[4:5]
	s_or_b64 s[0:1], vcc, s[0:1]
                                        ; implicit-def: $vgpr13
	s_and_saveexec_b64 s[24:25], s[0:1]
	s_xor_b64 s[0:1], exec, s[24:25]
; %bb.23:                               ;   in Loop: Header=BB38_15 Depth=1
	v_min_i32_e32 v5, 15, v14
	v_lshl_or_b32 v1, v5, 3, v1
	v_and_or_b32 v13, v4, 7, v1
                                        ; implicit-def: $vgpr1
; %bb.24:                               ;   in Loop: Header=BB38_15 Depth=1
	s_andn2_saveexec_b64 s[0:1], s[0:1]
; %bb.25:                               ;   in Loop: Header=BB38_15 Depth=1
	v_mov_b32_e32 v13, v1
; %bb.26:                               ;   in Loop: Header=BB38_15 Depth=1
	s_or_b64 exec, exec, s[0:1]
.LBB38_27:                              ;   in Loop: Header=BB38_15 Depth=1
	s_or_b64 exec, exec, s[18:19]
.LBB38_28:                              ;   in Loop: Header=BB38_15 Depth=1
	s_andn2_saveexec_b64 s[0:1], s[16:17]
	s_or_b64 exec, exec, s[0:1]
                                        ; implicit-def: $vgpr14
                                        ; implicit-def: $vgpr4_vgpr5
.LBB38_29:                              ;   in Loop: Header=BB38_15 Depth=1
	s_andn2_saveexec_b64 s[0:1], s[10:11]
	s_cbranch_execz .LBB38_14
; %bb.30:                               ;   in Loop: Header=BB38_15 Depth=1
	v_or_b32_sdwa v1, v14, s22 dst_sel:DWORD dst_unused:UNUSED_PAD src0_sel:BYTE_3 src1_sel:DWORD
	v_cmp_eq_u64_e32 vcc, 0, v[4:5]
	v_cndmask_b32_e32 v13, v1, v13, vcc
	s_branch .LBB38_14
.LBB38_31:
	s_endpgm
	.section	.rodata,"a",@progbits
	.p2align	6, 0x0
	.amdhsa_kernel _ZN4vllm42fused_add_rms_norm_static_fp8_quant_kernelIN3c104HalfELi0ENS1_13Float8_e4m3fnEEENSt9enable_ifIXooeqT0_Li0Entsr12_typeConvertIT_EE6existsEvE4typeEPT1_PS5_iSA_PKS5_PKffii
		.amdhsa_group_segment_fixed_size 68
		.amdhsa_private_segment_fixed_size 0
		.amdhsa_kernarg_size 320
		.amdhsa_user_sgpr_count 6
		.amdhsa_user_sgpr_private_segment_buffer 1
		.amdhsa_user_sgpr_dispatch_ptr 0
		.amdhsa_user_sgpr_queue_ptr 0
		.amdhsa_user_sgpr_kernarg_segment_ptr 1
		.amdhsa_user_sgpr_dispatch_id 0
		.amdhsa_user_sgpr_flat_scratch_init 0
		.amdhsa_user_sgpr_kernarg_preload_length 0
		.amdhsa_user_sgpr_kernarg_preload_offset 0
		.amdhsa_user_sgpr_private_segment_size 0
		.amdhsa_uses_dynamic_stack 0
		.amdhsa_system_sgpr_private_segment_wavefront_offset 0
		.amdhsa_system_sgpr_workgroup_id_x 1
		.amdhsa_system_sgpr_workgroup_id_y 0
		.amdhsa_system_sgpr_workgroup_id_z 0
		.amdhsa_system_sgpr_workgroup_info 0
		.amdhsa_system_vgpr_workitem_id 0
		.amdhsa_next_free_vgpr 19
		.amdhsa_next_free_sgpr 26
		.amdhsa_accum_offset 20
		.amdhsa_reserve_vcc 1
		.amdhsa_reserve_flat_scratch 0
		.amdhsa_float_round_mode_32 0
		.amdhsa_float_round_mode_16_64 0
		.amdhsa_float_denorm_mode_32 3
		.amdhsa_float_denorm_mode_16_64 3
		.amdhsa_dx10_clamp 1
		.amdhsa_ieee_mode 1
		.amdhsa_fp16_overflow 0
		.amdhsa_tg_split 0
		.amdhsa_exception_fp_ieee_invalid_op 0
		.amdhsa_exception_fp_denorm_src 0
		.amdhsa_exception_fp_ieee_div_zero 0
		.amdhsa_exception_fp_ieee_overflow 0
		.amdhsa_exception_fp_ieee_underflow 0
		.amdhsa_exception_fp_ieee_inexact 0
		.amdhsa_exception_int_div_zero 0
	.end_amdhsa_kernel
	.section	.text._ZN4vllm42fused_add_rms_norm_static_fp8_quant_kernelIN3c104HalfELi0ENS1_13Float8_e4m3fnEEENSt9enable_ifIXooeqT0_Li0Entsr12_typeConvertIT_EE6existsEvE4typeEPT1_PS5_iSA_PKS5_PKffii,"axG",@progbits,_ZN4vllm42fused_add_rms_norm_static_fp8_quant_kernelIN3c104HalfELi0ENS1_13Float8_e4m3fnEEENSt9enable_ifIXooeqT0_Li0Entsr12_typeConvertIT_EE6existsEvE4typeEPT1_PS5_iSA_PKS5_PKffii,comdat
.Lfunc_end38:
	.size	_ZN4vllm42fused_add_rms_norm_static_fp8_quant_kernelIN3c104HalfELi0ENS1_13Float8_e4m3fnEEENSt9enable_ifIXooeqT0_Li0Entsr12_typeConvertIT_EE6existsEvE4typeEPT1_PS5_iSA_PKS5_PKffii, .Lfunc_end38-_ZN4vllm42fused_add_rms_norm_static_fp8_quant_kernelIN3c104HalfELi0ENS1_13Float8_e4m3fnEEENSt9enable_ifIXooeqT0_Li0Entsr12_typeConvertIT_EE6existsEvE4typeEPT1_PS5_iSA_PKS5_PKffii
                                        ; -- End function
	.section	.AMDGPU.csdata,"",@progbits
; Kernel info:
; codeLenInByte = 1860
; NumSgprs: 30
; NumVgprs: 19
; NumAgprs: 0
; TotalNumVgprs: 19
; ScratchSize: 0
; MemoryBound: 0
; FloatMode: 240
; IeeeMode: 1
; LDSByteSize: 68 bytes/workgroup (compile time only)
; SGPRBlocks: 3
; VGPRBlocks: 2
; NumSGPRsForWavesPerEU: 30
; NumVGPRsForWavesPerEU: 19
; AccumOffset: 20
; Occupancy: 8
; WaveLimiterHint : 0
; COMPUTE_PGM_RSRC2:SCRATCH_EN: 0
; COMPUTE_PGM_RSRC2:USER_SGPR: 6
; COMPUTE_PGM_RSRC2:TRAP_HANDLER: 0
; COMPUTE_PGM_RSRC2:TGID_X_EN: 1
; COMPUTE_PGM_RSRC2:TGID_Y_EN: 0
; COMPUTE_PGM_RSRC2:TGID_Z_EN: 0
; COMPUTE_PGM_RSRC2:TIDIG_COMP_CNT: 0
; COMPUTE_PGM_RSRC3_GFX90A:ACCUM_OFFSET: 4
; COMPUTE_PGM_RSRC3_GFX90A:TG_SPLIT: 0
	.section	.text._ZN4vllm42fused_add_rms_norm_static_fp8_quant_kernelIN3c104HalfELi0ENS1_15Float8_e4m3fnuzEEENSt9enable_ifIXooeqT0_Li0Entsr12_typeConvertIT_EE6existsEvE4typeEPT1_PS5_iSA_PKS5_PKffii,"axG",@progbits,_ZN4vllm42fused_add_rms_norm_static_fp8_quant_kernelIN3c104HalfELi0ENS1_15Float8_e4m3fnuzEEENSt9enable_ifIXooeqT0_Li0Entsr12_typeConvertIT_EE6existsEvE4typeEPT1_PS5_iSA_PKS5_PKffii,comdat
	.protected	_ZN4vllm42fused_add_rms_norm_static_fp8_quant_kernelIN3c104HalfELi0ENS1_15Float8_e4m3fnuzEEENSt9enable_ifIXooeqT0_Li0Entsr12_typeConvertIT_EE6existsEvE4typeEPT1_PS5_iSA_PKS5_PKffii ; -- Begin function _ZN4vllm42fused_add_rms_norm_static_fp8_quant_kernelIN3c104HalfELi0ENS1_15Float8_e4m3fnuzEEENSt9enable_ifIXooeqT0_Li0Entsr12_typeConvertIT_EE6existsEvE4typeEPT1_PS5_iSA_PKS5_PKffii
	.globl	_ZN4vllm42fused_add_rms_norm_static_fp8_quant_kernelIN3c104HalfELi0ENS1_15Float8_e4m3fnuzEEENSt9enable_ifIXooeqT0_Li0Entsr12_typeConvertIT_EE6existsEvE4typeEPT1_PS5_iSA_PKS5_PKffii
	.p2align	8
	.type	_ZN4vllm42fused_add_rms_norm_static_fp8_quant_kernelIN3c104HalfELi0ENS1_15Float8_e4m3fnuzEEENSt9enable_ifIXooeqT0_Li0Entsr12_typeConvertIT_EE6existsEvE4typeEPT1_PS5_iSA_PKS5_PKffii,@function
_ZN4vllm42fused_add_rms_norm_static_fp8_quant_kernelIN3c104HalfELi0ENS1_15Float8_e4m3fnuzEEENSt9enable_ifIXooeqT0_Li0Entsr12_typeConvertIT_EE6existsEvE4typeEPT1_PS5_iSA_PKS5_PKffii: ; @_ZN4vllm42fused_add_rms_norm_static_fp8_quant_kernelIN3c104HalfELi0ENS1_15Float8_e4m3fnuzEEENSt9enable_ifIXooeqT0_Li0Entsr12_typeConvertIT_EE6existsEvE4typeEPT1_PS5_iSA_PKS5_PKffii
; %bb.0:
	s_load_dword s20, s[4:5], 0x38
	s_load_dwordx2 s[12:13], s[4:5], 0x18
                                        ; implicit-def: $sgpr16
                                        ; implicit-def: $sgpr7
	s_waitcnt lgkmcnt(0)
	v_cmp_gt_i32_e64 s[0:1], s20, v0
	v_cmp_le_i32_e32 vcc, s20, v0
	s_and_saveexec_b64 s[2:3], vcc
	s_xor_b64 s[2:3], exec, s[2:3]
	s_cbranch_execz .LBB39_2
; %bb.1:
	s_load_dword s7, s[4:5], 0x4c
	s_mov_b32 s16, 0
	s_waitcnt lgkmcnt(0)
	s_and_b32 s7, s7, 0xffff
.LBB39_2:
	s_or_saveexec_b64 s[2:3], s[2:3]
	s_load_dwordx2 s[14:15], s[4:5], 0x0
	s_load_dwordx4 s[8:11], s[4:5], 0x20
	v_mov_b32_e32 v4, s16
	v_mov_b32_e32 v6, s7
	s_mul_i32 s21, s6, s20
	s_xor_b64 exec, exec, s[2:3]
	s_cbranch_execz .LBB39_6
; %bb.3:
	s_load_dword s7, s[4:5], 0x10
	s_load_dword s22, s[4:5], 0x4c
	s_load_dwordx2 s[16:17], s[4:5], 0x8
	s_mov_b64 s[18:19], 0
	v_mov_b32_e32 v3, 0
	s_waitcnt lgkmcnt(0)
	s_mul_i32 s7, s6, s7
	s_and_b32 s6, s22, 0xffff
	v_mov_b32_e32 v1, s17
	v_mov_b32_e32 v5, s13
	;; [unrolled: 1-line block ×4, first 2 shown]
.LBB39_4:                               ; =>This Inner Loop Header: Depth=1
	v_add_u32_e32 v2, s7, v6
	v_lshlrev_b64 v[8:9], 1, v[2:3]
	v_add_u32_e32 v2, s21, v6
	v_add_co_u32_e32 v8, vcc, s16, v8
	v_addc_co_u32_e32 v9, vcc, v1, v9, vcc
	v_lshlrev_b64 v[10:11], 1, v[2:3]
	global_load_ushort v2, v[8:9], off
	v_add_co_u32_e32 v8, vcc, s12, v10
	v_addc_co_u32_e32 v9, vcc, v5, v11, vcc
	global_load_ushort v7, v[8:9], off
	v_add_u32_e32 v6, s6, v6
	v_cmp_le_i32_e32 vcc, s20, v6
	s_or_b64 s[18:19], vcc, s[18:19]
	s_waitcnt vmcnt(0)
	v_add_f16_e32 v2, v2, v7
	v_fma_mix_f32 v4, v2, v2, v4 op_sel_hi:[1,1,0]
	global_store_short v[8:9], v2, off
	s_andn2_b64 exec, exec, s[18:19]
	s_cbranch_execnz .LBB39_4
; %bb.5:
	s_or_b64 exec, exec, s[18:19]
	v_mov_b32_e32 v6, s6
.LBB39_6:
	s_or_b64 exec, exec, s[2:3]
	v_mbcnt_lo_u32_b32 v1, -1, 0
	v_mbcnt_hi_u32_b32 v1, -1, v1
	v_and_b32_e32 v2, 63, v1
	v_cmp_ne_u32_e32 vcc, 63, v2
	v_addc_co_u32_e32 v3, vcc, 0, v1, vcc
	v_lshlrev_b32_e32 v3, 2, v3
	ds_bpermute_b32 v3, v3, v4
	v_and_b32_e32 v5, 0x3c0, v0
	v_sub_u32_e64 v5, v6, v5 clamp
	v_add_u32_e32 v7, 1, v1
	v_cmp_lt_u32_e32 vcc, v7, v5
	s_waitcnt lgkmcnt(0)
	v_add_f32_e32 v3, v4, v3
	v_cndmask_b32_e32 v3, v4, v3, vcc
	v_cmp_gt_u32_e32 vcc, 62, v2
	v_cndmask_b32_e64 v4, 0, 1, vcc
	v_lshlrev_b32_e32 v4, 1, v4
	v_add_lshl_u32 v4, v4, v1, 2
	ds_bpermute_b32 v4, v4, v3
	v_add_u32_e32 v7, 2, v1
	v_cmp_lt_u32_e32 vcc, v7, v5
	v_add_u32_e32 v7, 4, v1
	s_waitcnt lgkmcnt(0)
	v_add_f32_e32 v4, v3, v4
	v_cndmask_b32_e32 v3, v3, v4, vcc
	v_cmp_gt_u32_e32 vcc, 60, v2
	v_cndmask_b32_e64 v4, 0, 1, vcc
	v_lshlrev_b32_e32 v4, 2, v4
	v_add_lshl_u32 v4, v4, v1, 2
	ds_bpermute_b32 v4, v4, v3
	v_cmp_lt_u32_e32 vcc, v7, v5
	v_add_u32_e32 v7, 8, v1
	s_waitcnt lgkmcnt(0)
	v_add_f32_e32 v4, v3, v4
	v_cndmask_b32_e32 v3, v3, v4, vcc
	v_cmp_gt_u32_e32 vcc, 56, v2
	v_cndmask_b32_e64 v4, 0, 1, vcc
	v_lshlrev_b32_e32 v4, 3, v4
	v_add_lshl_u32 v4, v4, v1, 2
	ds_bpermute_b32 v4, v4, v3
	;; [unrolled: 10-line block ×3, first 2 shown]
	v_cmp_lt_u32_e32 vcc, v7, v5
	s_waitcnt lgkmcnt(0)
	v_add_f32_e32 v4, v3, v4
	v_cndmask_b32_e32 v3, v3, v4, vcc
	v_cmp_gt_u32_e32 vcc, 32, v2
	v_cndmask_b32_e64 v2, 0, 1, vcc
	v_lshlrev_b32_e32 v2, 5, v2
	v_add_lshl_u32 v2, v2, v1, 2
	ds_bpermute_b32 v2, v2, v3
	v_add_u32_e32 v4, 32, v1
	v_cmp_lt_u32_e32 vcc, v4, v5
	s_waitcnt lgkmcnt(0)
	v_add_f32_e32 v2, v3, v2
	v_cndmask_b32_e32 v2, v3, v2, vcc
	v_cmp_eq_u32_e32 vcc, 0, v1
	s_and_saveexec_b64 s[2:3], vcc
	s_cbranch_execz .LBB39_8
; %bb.7:
	v_lshrrev_b32_e32 v3, 4, v0
	v_and_b32_e32 v3, 60, v3
	ds_write_b32 v3, v2
.LBB39_8:
	s_or_b64 exec, exec, s[2:3]
	v_cmp_gt_u32_e32 vcc, 16, v0
	s_waitcnt lgkmcnt(0)
	s_barrier
	s_and_saveexec_b64 s[6:7], vcc
	s_cbranch_execz .LBB39_10
; %bb.9:
	v_lshlrev_b32_e32 v2, 2, v1
	ds_read_b32 v2, v2
	v_and_b32_e32 v3, 15, v1
	v_cmp_ne_u32_e32 vcc, 15, v3
	v_addc_co_u32_e32 v4, vcc, 0, v1, vcc
	v_lshlrev_b32_e32 v4, 2, v4
	s_waitcnt lgkmcnt(0)
	ds_bpermute_b32 v4, v4, v2
	v_add_u32_e32 v5, 63, v6
	v_lshrrev_b32_e32 v5, 6, v5
	v_add_u32_e32 v7, 1, v3
	v_cmp_gt_u32_e64 s[2:3], 14, v3
	v_cmp_lt_u32_e32 vcc, v7, v5
	v_cndmask_b32_e64 v7, 0, 1, s[2:3]
	s_waitcnt lgkmcnt(0)
	v_add_f32_e32 v4, v2, v4
	v_lshlrev_b32_e32 v7, 1, v7
	v_cndmask_b32_e32 v4, v2, v4, vcc
	v_add_lshl_u32 v7, v7, v1, 2
	ds_bpermute_b32 v7, v7, v4
	v_add_u32_e32 v8, 2, v3
	v_cmp_lt_u32_e64 s[2:3], v8, v5
	v_add_u32_e32 v8, 4, v3
	s_waitcnt lgkmcnt(0)
	v_add_f32_e32 v7, v4, v7
	v_cndmask_b32_e64 v4, v4, v7, s[2:3]
	v_cmp_gt_u32_e64 s[2:3], 12, v3
	v_cndmask_b32_e64 v7, 0, 1, s[2:3]
	v_lshlrev_b32_e32 v7, 2, v7
	v_add_lshl_u32 v7, v7, v1, 2
	ds_bpermute_b32 v7, v7, v4
	v_cmp_lt_u32_e64 s[2:3], v8, v5
	s_waitcnt lgkmcnt(0)
	v_add_f32_e32 v7, v4, v7
	v_cndmask_b32_e64 v4, v4, v7, s[2:3]
	v_cmp_gt_u32_e64 s[2:3], 8, v3
	v_cndmask_b32_e64 v7, 0, 1, s[2:3]
	v_lshlrev_b32_e32 v7, 3, v7
	v_add_lshl_u32 v1, v7, v1, 2
	ds_bpermute_b32 v1, v1, v4
	v_add_u32_e32 v3, 8, v3
	v_cmp_lt_u32_e64 s[2:3], v3, v5
	s_waitcnt lgkmcnt(0)
	v_add_f32_e32 v1, v4, v1
	v_cndmask_b32_e64 v1, v4, v1, s[2:3]
	v_cndmask_b32_e32 v2, v2, v1, vcc
.LBB39_10:
	s_or_b64 exec, exec, s[6:7]
	v_cmp_eq_u32_e32 vcc, 0, v0
	s_and_saveexec_b64 s[2:3], vcc
	s_cbranch_execz .LBB39_12
; %bb.11:
	v_cvt_f32_i32_e32 v1, s20
	s_load_dword s6, s[4:5], 0x30
	v_div_scale_f32 v3, s[4:5], v1, v1, v2
	v_rcp_f32_e32 v4, v3
	v_div_scale_f32 v5, vcc, v2, v1, v2
	s_mov_b32 s4, 0x800000
	v_fma_f32 v7, -v3, v4, 1.0
	v_fmac_f32_e32 v4, v7, v4
	v_mul_f32_e32 v7, v5, v4
	v_fma_f32 v8, -v3, v7, v5
	v_fmac_f32_e32 v7, v8, v4
	v_fma_f32 v3, -v3, v7, v5
	v_div_fmas_f32 v3, v3, v4, v7
	v_div_fixup_f32 v1, v3, v1, v2
	s_waitcnt lgkmcnt(0)
	v_add_f32_e32 v1, s6, v1
	v_mul_f32_e32 v2, 0x4b800000, v1
	v_cmp_gt_f32_e32 vcc, s4, v1
	v_cndmask_b32_e32 v1, v1, v2, vcc
	v_rsq_f32_e32 v1, v1
	v_mul_f32_e32 v2, 0x45800000, v1
	v_cndmask_b32_e32 v1, v1, v2, vcc
	v_mov_b32_e32 v2, 0
	ds_write_b32 v2, v1 offset:64
.LBB39_12:
	s_or_b64 exec, exec, s[2:3]
	s_waitcnt lgkmcnt(0)
	s_barrier
	s_and_saveexec_b64 s[2:3], s[0:1]
	s_cbranch_execz .LBB39_25
; %bb.13:
	s_load_dword s4, s[10:11], 0x0
	v_mov_b32_e32 v3, 0
	ds_read_b32 v7, v3 offset:64
	s_mov_b64 s[2:3], 0
	v_mov_b32_e32 v9, s13
	s_waitcnt lgkmcnt(0)
	v_div_scale_f32 v1, s[0:1], s4, s4, 1.0
	v_rcp_f32_e32 v2, v1
	v_div_scale_f32 v4, vcc, 1.0, s4, 1.0
	v_mov_b32_e32 v10, s9
	v_fma_f32 v5, -v1, v2, 1.0
	v_fmac_f32_e32 v2, v5, v2
	v_mul_f32_e32 v5, v4, v2
	v_fma_f32 v8, -v1, v5, v4
	v_fmac_f32_e32 v5, v8, v2
	v_fma_f32 v1, -v1, v5, v4
	v_div_fmas_f32 v1, v1, v2, v5
	v_div_fixup_f32 v8, v1, s4, 1.0
	s_movk_i32 s9, 0x7f
	s_mov_b64 s[4:5], 0x7f800000
	s_mov_b64 s[6:7], 0x43700001
	s_movk_i32 s13, 0x78
	s_movk_i32 s22, 0x80
	v_mov_b32_e32 v11, 0x77
	v_mov_b32_e32 v12, 0xffffff8a
	;; [unrolled: 1-line block ×3, first 2 shown]
	s_branch .LBB39_18
.LBB39_14:                              ;   in Loop: Header=BB39_18 Depth=1
	s_or_b64 exec, exec, s[0:1]
	v_lshrrev_b64 v[4:5], 20, v[4:5]
	v_cmp_gt_i32_e32 vcc, 16, v14
	v_and_b32_sdwa v1, v1, s22 dst_sel:DWORD dst_unused:UNUSED_PAD src0_sel:BYTE_3 src1_sel:DWORD
	v_min_i32_e32 v15, 15, v14
	v_cndmask_b32_e32 v5, 0, v5, vcc
	v_cndmask_b32_e32 v4, 7, v4, vcc
	v_cmp_eq_u32_e32 vcc, 0, v14
	v_cmp_eq_u64_e64 s[0:1], 0, v[4:5]
	v_lshl_or_b32 v1, v15, 3, v1
	v_and_or_b32 v1, v4, 7, v1
	s_and_b64 s[0:1], vcc, s[0:1]
	v_cndmask_b32_e64 v4, v1, 0, s[0:1]
.LBB39_15:                              ;   in Loop: Header=BB39_18 Depth=1
	s_or_b64 exec, exec, s[18:19]
.LBB39_16:                              ;   in Loop: Header=BB39_18 Depth=1
	s_andn2_saveexec_b64 s[0:1], s[16:17]
	s_or_b64 exec, exec, s[0:1]
.LBB39_17:                              ;   in Loop: Header=BB39_18 Depth=1
	s_andn2_saveexec_b64 s[0:1], s[10:11]
	s_or_b64 exec, exec, s[0:1]
	v_add_co_u32_e32 v14, vcc, s14, v2
	v_addc_co_u32_e32 v15, vcc, 0, v13, vcc
	v_add_u32_e32 v0, v0, v6
	v_cmp_le_i32_e32 vcc, s20, v0
	s_or_b64 s[2:3], vcc, s[2:3]
	global_store_byte v[14:15], v4, off
	s_andn2_b64 exec, exec, s[2:3]
	s_cbranch_execz .LBB39_25
.LBB39_18:                              ; =>This Inner Loop Header: Depth=1
	v_add_u32_e32 v2, s21, v0
	v_lshlrev_b64 v[4:5], 1, v[2:3]
	v_add_co_u32_e32 v4, vcc, s12, v4
	v_addc_co_u32_e32 v5, vcc, v9, v5, vcc
	v_ashrrev_i32_e32 v1, 31, v0
	global_load_ushort v14, v[4:5], off
	v_lshlrev_b64 v[4:5], 1, v[0:1]
	v_add_co_u32_e32 v4, vcc, s8, v4
	v_addc_co_u32_e32 v5, vcc, v10, v5, vcc
	global_load_ushort v1, v[4:5], off
	v_mov_b32_e32 v15, v3
	s_waitcnt vmcnt(1)
	v_fma_mixlo_f16 v4, v7, v14, 0 op_sel_hi:[0,1,0]
	s_waitcnt vmcnt(0)
	v_mul_f16_e32 v1, v1, v4
	v_cvt_f32_f16_e32 v1, v1
	v_mul_f32_e32 v1, v8, v1
	v_min_f32_e32 v1, 0x43600000, v1
	v_max_f32_e32 v1, 0xc3600000, v1
	v_and_b32_e32 v14, 0x7f800000, v1
	v_or_b32_sdwa v4, v1, s9 dst_sel:DWORD dst_unused:UNUSED_PAD src0_sel:BYTE_3 src1_sel:DWORD
	v_cmp_ne_u64_e32 vcc, s[4:5], v[14:15]
	s_and_saveexec_b64 s[0:1], vcc
	s_xor_b64 s[10:11], exec, s[0:1]
	s_cbranch_execz .LBB39_17
; %bb.19:                               ;   in Loop: Header=BB39_18 Depth=1
	v_and_b32_e32 v14, 0x7fffffff, v1
	v_mov_b32_e32 v15, v3
	v_cmp_gt_u64_e32 vcc, s[6:7], v[14:15]
	s_and_saveexec_b64 s[0:1], vcc
	s_xor_b64 s[16:17], exec, s[0:1]
	s_cbranch_execz .LBB39_16
; %bb.20:                               ;   in Loop: Header=BB39_18 Depth=1
	v_cmp_ne_u32_e32 vcc, 0, v1
	v_mov_b32_e32 v4, 0
	s_and_saveexec_b64 s[18:19], vcc
	s_cbranch_execz .LBB39_15
; %bb.21:                               ;   in Loop: Header=BB39_18 Depth=1
	v_bfe_u32 v5, v1, 23, 8
	v_sub_u32_e64 v14, s13, v5 clamp
	v_cmp_eq_u32_e32 vcc, 0, v5
	v_and_b32_e32 v4, 0x7fffff, v1
	v_cndmask_b32_e32 v19, v14, v11, vcc
	v_or_b32_e32 v15, 0x800000, v4
	v_add_u32_e32 v14, 20, v19
	v_cndmask_b32_e32 v4, v15, v4, vcc
	v_lshlrev_b64 v[14:15], v14, -1
	v_add_u32_e32 v18, 0xffffff89, v5
	v_mov_b32_e32 v5, v3
	v_not_b32_e32 v14, v14
	v_add_u32_e32 v16, 19, v19
	v_and_b32_e32 v14, v4, v14
	v_mov_b32_e32 v15, v3
	v_lshlrev_b64 v[16:17], v16, 1
	v_lshrrev_b64 v[4:5], v19, v[4:5]
	v_cmp_eq_u64_e64 s[0:1], v[14:15], v[16:17]
	v_cndmask_b32_e32 v14, v18, v12, vcc
	v_lshrrev_b32_e32 v15, 23, v4
	v_add3_u32 v15, v14, v19, v15
	v_and_b32_e32 v18, 0x100000, v4
	v_mov_b32_e32 v19, v3
	v_cmp_eq_u64_e32 vcc, 0, v[18:19]
	s_and_b64 vcc, vcc, s[0:1]
	v_subbrev_co_u32_e32 v14, vcc, 0, v4, vcc
	v_and_b32_e32 v14, 0xfffff, v14
	v_add_co_u32_e32 v4, vcc, v14, v4
	v_add_u32_e32 v16, -1, v15
	v_addc_co_u32_e32 v5, vcc, 0, v5, vcc
	v_cmp_ne_u32_e32 vcc, 0, v16
                                        ; implicit-def: $vgpr14
	s_and_saveexec_b64 s[0:1], vcc
	s_xor_b64 s[0:1], exec, s[0:1]
; %bb.22:                               ;   in Loop: Header=BB39_18 Depth=1
	v_and_b32_e32 v18, 0x1000000, v4
	v_mov_b32_e32 v19, v3
	v_cmp_eq_u64_e32 vcc, 0, v[18:19]
	v_cndmask_b32_e32 v14, v15, v16, vcc
	v_bfe_u32 v15, v4, 24, 1
	v_lshrrev_b64 v[4:5], v15, v[4:5]
; %bb.23:                               ;   in Loop: Header=BB39_18 Depth=1
	s_andn2_saveexec_b64 s[0:1], s[0:1]
	s_cbranch_execz .LBB39_14
; %bb.24:                               ;   in Loop: Header=BB39_18 Depth=1
	v_bfe_u32 v14, v4, 23, 1
	s_branch .LBB39_14
.LBB39_25:
	s_endpgm
	.section	.rodata,"a",@progbits
	.p2align	6, 0x0
	.amdhsa_kernel _ZN4vllm42fused_add_rms_norm_static_fp8_quant_kernelIN3c104HalfELi0ENS1_15Float8_e4m3fnuzEEENSt9enable_ifIXooeqT0_Li0Entsr12_typeConvertIT_EE6existsEvE4typeEPT1_PS5_iSA_PKS5_PKffii
		.amdhsa_group_segment_fixed_size 68
		.amdhsa_private_segment_fixed_size 0
		.amdhsa_kernarg_size 320
		.amdhsa_user_sgpr_count 6
		.amdhsa_user_sgpr_private_segment_buffer 1
		.amdhsa_user_sgpr_dispatch_ptr 0
		.amdhsa_user_sgpr_queue_ptr 0
		.amdhsa_user_sgpr_kernarg_segment_ptr 1
		.amdhsa_user_sgpr_dispatch_id 0
		.amdhsa_user_sgpr_flat_scratch_init 0
		.amdhsa_user_sgpr_kernarg_preload_length 0
		.amdhsa_user_sgpr_kernarg_preload_offset 0
		.amdhsa_user_sgpr_private_segment_size 0
		.amdhsa_uses_dynamic_stack 0
		.amdhsa_system_sgpr_private_segment_wavefront_offset 0
		.amdhsa_system_sgpr_workgroup_id_x 1
		.amdhsa_system_sgpr_workgroup_id_y 0
		.amdhsa_system_sgpr_workgroup_id_z 0
		.amdhsa_system_sgpr_workgroup_info 0
		.amdhsa_system_vgpr_workitem_id 0
		.amdhsa_next_free_vgpr 20
		.amdhsa_next_free_sgpr 23
		.amdhsa_accum_offset 20
		.amdhsa_reserve_vcc 1
		.amdhsa_reserve_flat_scratch 0
		.amdhsa_float_round_mode_32 0
		.amdhsa_float_round_mode_16_64 0
		.amdhsa_float_denorm_mode_32 3
		.amdhsa_float_denorm_mode_16_64 3
		.amdhsa_dx10_clamp 1
		.amdhsa_ieee_mode 1
		.amdhsa_fp16_overflow 0
		.amdhsa_tg_split 0
		.amdhsa_exception_fp_ieee_invalid_op 0
		.amdhsa_exception_fp_denorm_src 0
		.amdhsa_exception_fp_ieee_div_zero 0
		.amdhsa_exception_fp_ieee_overflow 0
		.amdhsa_exception_fp_ieee_underflow 0
		.amdhsa_exception_fp_ieee_inexact 0
		.amdhsa_exception_int_div_zero 0
	.end_amdhsa_kernel
	.section	.text._ZN4vllm42fused_add_rms_norm_static_fp8_quant_kernelIN3c104HalfELi0ENS1_15Float8_e4m3fnuzEEENSt9enable_ifIXooeqT0_Li0Entsr12_typeConvertIT_EE6existsEvE4typeEPT1_PS5_iSA_PKS5_PKffii,"axG",@progbits,_ZN4vllm42fused_add_rms_norm_static_fp8_quant_kernelIN3c104HalfELi0ENS1_15Float8_e4m3fnuzEEENSt9enable_ifIXooeqT0_Li0Entsr12_typeConvertIT_EE6existsEvE4typeEPT1_PS5_iSA_PKS5_PKffii,comdat
.Lfunc_end39:
	.size	_ZN4vllm42fused_add_rms_norm_static_fp8_quant_kernelIN3c104HalfELi0ENS1_15Float8_e4m3fnuzEEENSt9enable_ifIXooeqT0_Li0Entsr12_typeConvertIT_EE6existsEvE4typeEPT1_PS5_iSA_PKS5_PKffii, .Lfunc_end39-_ZN4vllm42fused_add_rms_norm_static_fp8_quant_kernelIN3c104HalfELi0ENS1_15Float8_e4m3fnuzEEENSt9enable_ifIXooeqT0_Li0Entsr12_typeConvertIT_EE6existsEvE4typeEPT1_PS5_iSA_PKS5_PKffii
                                        ; -- End function
	.section	.AMDGPU.csdata,"",@progbits
; Kernel info:
; codeLenInByte = 1828
; NumSgprs: 27
; NumVgprs: 20
; NumAgprs: 0
; TotalNumVgprs: 20
; ScratchSize: 0
; MemoryBound: 0
; FloatMode: 240
; IeeeMode: 1
; LDSByteSize: 68 bytes/workgroup (compile time only)
; SGPRBlocks: 3
; VGPRBlocks: 2
; NumSGPRsForWavesPerEU: 27
; NumVGPRsForWavesPerEU: 20
; AccumOffset: 20
; Occupancy: 8
; WaveLimiterHint : 0
; COMPUTE_PGM_RSRC2:SCRATCH_EN: 0
; COMPUTE_PGM_RSRC2:USER_SGPR: 6
; COMPUTE_PGM_RSRC2:TRAP_HANDLER: 0
; COMPUTE_PGM_RSRC2:TGID_X_EN: 1
; COMPUTE_PGM_RSRC2:TGID_Y_EN: 0
; COMPUTE_PGM_RSRC2:TGID_Z_EN: 0
; COMPUTE_PGM_RSRC2:TIDIG_COMP_CNT: 0
; COMPUTE_PGM_RSRC3_GFX90A:ACCUM_OFFSET: 4
; COMPUTE_PGM_RSRC3_GFX90A:TG_SPLIT: 0
	.section	.text._ZN4vllm42fused_add_rms_norm_static_fp8_quant_kernelIN3c108BFloat16ELi0ENS1_13Float8_e4m3fnEEENSt9enable_ifIXooeqT0_Li0Entsr12_typeConvertIT_EE6existsEvE4typeEPT1_PS5_iSA_PKS5_PKffii,"axG",@progbits,_ZN4vllm42fused_add_rms_norm_static_fp8_quant_kernelIN3c108BFloat16ELi0ENS1_13Float8_e4m3fnEEENSt9enable_ifIXooeqT0_Li0Entsr12_typeConvertIT_EE6existsEvE4typeEPT1_PS5_iSA_PKS5_PKffii,comdat
	.protected	_ZN4vllm42fused_add_rms_norm_static_fp8_quant_kernelIN3c108BFloat16ELi0ENS1_13Float8_e4m3fnEEENSt9enable_ifIXooeqT0_Li0Entsr12_typeConvertIT_EE6existsEvE4typeEPT1_PS5_iSA_PKS5_PKffii ; -- Begin function _ZN4vllm42fused_add_rms_norm_static_fp8_quant_kernelIN3c108BFloat16ELi0ENS1_13Float8_e4m3fnEEENSt9enable_ifIXooeqT0_Li0Entsr12_typeConvertIT_EE6existsEvE4typeEPT1_PS5_iSA_PKS5_PKffii
	.globl	_ZN4vllm42fused_add_rms_norm_static_fp8_quant_kernelIN3c108BFloat16ELi0ENS1_13Float8_e4m3fnEEENSt9enable_ifIXooeqT0_Li0Entsr12_typeConvertIT_EE6existsEvE4typeEPT1_PS5_iSA_PKS5_PKffii
	.p2align	8
	.type	_ZN4vllm42fused_add_rms_norm_static_fp8_quant_kernelIN3c108BFloat16ELi0ENS1_13Float8_e4m3fnEEENSt9enable_ifIXooeqT0_Li0Entsr12_typeConvertIT_EE6existsEvE4typeEPT1_PS5_iSA_PKS5_PKffii,@function
_ZN4vllm42fused_add_rms_norm_static_fp8_quant_kernelIN3c108BFloat16ELi0ENS1_13Float8_e4m3fnEEENSt9enable_ifIXooeqT0_Li0Entsr12_typeConvertIT_EE6existsEvE4typeEPT1_PS5_iSA_PKS5_PKffii: ; @_ZN4vllm42fused_add_rms_norm_static_fp8_quant_kernelIN3c108BFloat16ELi0ENS1_13Float8_e4m3fnEEENSt9enable_ifIXooeqT0_Li0Entsr12_typeConvertIT_EE6existsEvE4typeEPT1_PS5_iSA_PKS5_PKffii
; %bb.0:
	s_load_dword s20, s[4:5], 0x38
	s_load_dwordx2 s[12:13], s[4:5], 0x18
                                        ; implicit-def: $sgpr16
                                        ; implicit-def: $sgpr7
	s_waitcnt lgkmcnt(0)
	v_cmp_gt_i32_e64 s[0:1], s20, v0
	v_cmp_le_i32_e32 vcc, s20, v0
	s_and_saveexec_b64 s[2:3], vcc
	s_xor_b64 s[2:3], exec, s[2:3]
	s_cbranch_execz .LBB40_2
; %bb.1:
	s_load_dword s7, s[4:5], 0x4c
	s_mov_b32 s16, 0
	s_waitcnt lgkmcnt(0)
	s_and_b32 s7, s7, 0xffff
.LBB40_2:
	s_or_saveexec_b64 s[2:3], s[2:3]
	s_load_dwordx2 s[14:15], s[4:5], 0x0
	s_load_dwordx4 s[8:11], s[4:5], 0x20
	v_mov_b32_e32 v4, s16
	v_mov_b32_e32 v6, s7
	s_mul_i32 s21, s6, s20
	s_xor_b64 exec, exec, s[2:3]
	s_cbranch_execz .LBB40_6
; %bb.3:
	s_load_dword s7, s[4:5], 0x10
	s_load_dword s22, s[4:5], 0x4c
	s_load_dwordx2 s[16:17], s[4:5], 0x8
	s_mov_b64 s[18:19], 0
	v_mov_b32_e32 v3, 0
	s_waitcnt lgkmcnt(0)
	s_mul_i32 s7, s6, s7
	s_and_b32 s6, s22, 0xffff
	v_mov_b32_e32 v1, s17
	v_mov_b32_e32 v5, s13
	s_movk_i32 s17, 0x7fff
	v_mov_b32_e32 v6, 0x7fc0
	v_mov_b32_e32 v4, 0
	;; [unrolled: 1-line block ×3, first 2 shown]
.LBB40_4:                               ; =>This Inner Loop Header: Depth=1
	v_add_u32_e32 v2, s7, v7
	v_lshlrev_b64 v[8:9], 1, v[2:3]
	v_add_u32_e32 v2, s21, v7
	v_add_co_u32_e32 v8, vcc, s16, v8
	v_addc_co_u32_e32 v9, vcc, v1, v9, vcc
	v_lshlrev_b64 v[10:11], 1, v[2:3]
	v_add_co_u32_e32 v10, vcc, s12, v10
	v_addc_co_u32_e32 v11, vcc, v5, v11, vcc
	global_load_ushort v2, v[8:9], off
	global_load_ushort v12, v[10:11], off
	v_add_u32_e32 v7, s6, v7
	v_cmp_le_i32_e32 vcc, s20, v7
	s_or_b64 s[18:19], vcc, s[18:19]
	s_waitcnt vmcnt(1)
	v_lshlrev_b32_e32 v2, 16, v2
	s_waitcnt vmcnt(0)
	v_lshlrev_b32_e32 v8, 16, v12
	v_add_f32_e32 v2, v8, v2
	v_bfe_u32 v8, v2, 16, 1
	v_add3_u32 v8, v2, v8, s17
	v_lshrrev_b32_e32 v8, 16, v8
	v_cmp_o_f32_e32 vcc, v2, v2
	v_cndmask_b32_e32 v2, v6, v8, vcc
	v_lshlrev_b32_e32 v8, 16, v2
	v_fmac_f32_e32 v4, v8, v8
	global_store_short v[10:11], v2, off
	s_andn2_b64 exec, exec, s[18:19]
	s_cbranch_execnz .LBB40_4
; %bb.5:
	s_or_b64 exec, exec, s[18:19]
	v_mov_b32_e32 v6, s6
.LBB40_6:
	s_or_b64 exec, exec, s[2:3]
	v_mbcnt_lo_u32_b32 v1, -1, 0
	v_mbcnt_hi_u32_b32 v1, -1, v1
	v_and_b32_e32 v2, 63, v1
	v_cmp_ne_u32_e32 vcc, 63, v2
	v_addc_co_u32_e32 v3, vcc, 0, v1, vcc
	v_lshlrev_b32_e32 v3, 2, v3
	ds_bpermute_b32 v3, v3, v4
	v_and_b32_e32 v5, 0x3c0, v0
	v_sub_u32_e64 v5, v6, v5 clamp
	v_add_u32_e32 v7, 1, v1
	v_cmp_lt_u32_e32 vcc, v7, v5
	s_waitcnt lgkmcnt(0)
	v_add_f32_e32 v3, v4, v3
	v_cndmask_b32_e32 v3, v4, v3, vcc
	v_cmp_gt_u32_e32 vcc, 62, v2
	v_cndmask_b32_e64 v4, 0, 1, vcc
	v_lshlrev_b32_e32 v4, 1, v4
	v_add_lshl_u32 v4, v4, v1, 2
	ds_bpermute_b32 v4, v4, v3
	v_add_u32_e32 v7, 2, v1
	v_cmp_lt_u32_e32 vcc, v7, v5
	v_add_u32_e32 v7, 4, v1
	s_waitcnt lgkmcnt(0)
	v_add_f32_e32 v4, v3, v4
	v_cndmask_b32_e32 v3, v3, v4, vcc
	v_cmp_gt_u32_e32 vcc, 60, v2
	v_cndmask_b32_e64 v4, 0, 1, vcc
	v_lshlrev_b32_e32 v4, 2, v4
	v_add_lshl_u32 v4, v4, v1, 2
	ds_bpermute_b32 v4, v4, v3
	v_cmp_lt_u32_e32 vcc, v7, v5
	v_add_u32_e32 v7, 8, v1
	s_waitcnt lgkmcnt(0)
	v_add_f32_e32 v4, v3, v4
	v_cndmask_b32_e32 v3, v3, v4, vcc
	v_cmp_gt_u32_e32 vcc, 56, v2
	v_cndmask_b32_e64 v4, 0, 1, vcc
	v_lshlrev_b32_e32 v4, 3, v4
	v_add_lshl_u32 v4, v4, v1, 2
	ds_bpermute_b32 v4, v4, v3
	;; [unrolled: 10-line block ×3, first 2 shown]
	v_cmp_lt_u32_e32 vcc, v7, v5
	s_waitcnt lgkmcnt(0)
	v_add_f32_e32 v4, v3, v4
	v_cndmask_b32_e32 v3, v3, v4, vcc
	v_cmp_gt_u32_e32 vcc, 32, v2
	v_cndmask_b32_e64 v2, 0, 1, vcc
	v_lshlrev_b32_e32 v2, 5, v2
	v_add_lshl_u32 v2, v2, v1, 2
	ds_bpermute_b32 v2, v2, v3
	v_add_u32_e32 v4, 32, v1
	v_cmp_lt_u32_e32 vcc, v4, v5
	s_waitcnt lgkmcnt(0)
	v_add_f32_e32 v2, v3, v2
	v_cndmask_b32_e32 v2, v3, v2, vcc
	v_cmp_eq_u32_e32 vcc, 0, v1
	s_and_saveexec_b64 s[2:3], vcc
	s_cbranch_execz .LBB40_8
; %bb.7:
	v_lshrrev_b32_e32 v3, 4, v0
	v_and_b32_e32 v3, 60, v3
	ds_write_b32 v3, v2
.LBB40_8:
	s_or_b64 exec, exec, s[2:3]
	v_cmp_gt_u32_e32 vcc, 16, v0
	s_waitcnt lgkmcnt(0)
	s_barrier
	s_and_saveexec_b64 s[6:7], vcc
	s_cbranch_execz .LBB40_10
; %bb.9:
	v_lshlrev_b32_e32 v2, 2, v1
	ds_read_b32 v2, v2
	v_and_b32_e32 v3, 15, v1
	v_cmp_ne_u32_e32 vcc, 15, v3
	v_addc_co_u32_e32 v4, vcc, 0, v1, vcc
	v_lshlrev_b32_e32 v4, 2, v4
	s_waitcnt lgkmcnt(0)
	ds_bpermute_b32 v4, v4, v2
	v_add_u32_e32 v5, 63, v6
	v_lshrrev_b32_e32 v5, 6, v5
	v_add_u32_e32 v7, 1, v3
	v_cmp_gt_u32_e64 s[2:3], 14, v3
	v_cmp_lt_u32_e32 vcc, v7, v5
	v_cndmask_b32_e64 v7, 0, 1, s[2:3]
	s_waitcnt lgkmcnt(0)
	v_add_f32_e32 v4, v2, v4
	v_lshlrev_b32_e32 v7, 1, v7
	v_cndmask_b32_e32 v4, v2, v4, vcc
	v_add_lshl_u32 v7, v7, v1, 2
	ds_bpermute_b32 v7, v7, v4
	v_add_u32_e32 v8, 2, v3
	v_cmp_lt_u32_e64 s[2:3], v8, v5
	v_add_u32_e32 v8, 4, v3
	s_waitcnt lgkmcnt(0)
	v_add_f32_e32 v7, v4, v7
	v_cndmask_b32_e64 v4, v4, v7, s[2:3]
	v_cmp_gt_u32_e64 s[2:3], 12, v3
	v_cndmask_b32_e64 v7, 0, 1, s[2:3]
	v_lshlrev_b32_e32 v7, 2, v7
	v_add_lshl_u32 v7, v7, v1, 2
	ds_bpermute_b32 v7, v7, v4
	v_cmp_lt_u32_e64 s[2:3], v8, v5
	s_waitcnt lgkmcnt(0)
	v_add_f32_e32 v7, v4, v7
	v_cndmask_b32_e64 v4, v4, v7, s[2:3]
	v_cmp_gt_u32_e64 s[2:3], 8, v3
	v_cndmask_b32_e64 v7, 0, 1, s[2:3]
	v_lshlrev_b32_e32 v7, 3, v7
	v_add_lshl_u32 v1, v7, v1, 2
	ds_bpermute_b32 v1, v1, v4
	v_add_u32_e32 v3, 8, v3
	v_cmp_lt_u32_e64 s[2:3], v3, v5
	s_waitcnt lgkmcnt(0)
	v_add_f32_e32 v1, v4, v1
	v_cndmask_b32_e64 v1, v4, v1, s[2:3]
	v_cndmask_b32_e32 v2, v2, v1, vcc
.LBB40_10:
	s_or_b64 exec, exec, s[6:7]
	v_cmp_eq_u32_e32 vcc, 0, v0
	s_and_saveexec_b64 s[2:3], vcc
	s_cbranch_execz .LBB40_12
; %bb.11:
	v_cvt_f32_i32_e32 v1, s20
	s_load_dword s6, s[4:5], 0x30
	v_div_scale_f32 v3, s[4:5], v1, v1, v2
	v_rcp_f32_e32 v4, v3
	v_div_scale_f32 v5, vcc, v2, v1, v2
	s_mov_b32 s4, 0x800000
	v_fma_f32 v7, -v3, v4, 1.0
	v_fmac_f32_e32 v4, v7, v4
	v_mul_f32_e32 v7, v5, v4
	v_fma_f32 v8, -v3, v7, v5
	v_fmac_f32_e32 v7, v8, v4
	v_fma_f32 v3, -v3, v7, v5
	v_div_fmas_f32 v3, v3, v4, v7
	v_div_fixup_f32 v1, v3, v1, v2
	s_waitcnt lgkmcnt(0)
	v_add_f32_e32 v1, s6, v1
	v_mul_f32_e32 v2, 0x4b800000, v1
	v_cmp_gt_f32_e32 vcc, s4, v1
	v_cndmask_b32_e32 v1, v1, v2, vcc
	v_rsq_f32_e32 v1, v1
	v_mul_f32_e32 v2, 0x45800000, v1
	v_cndmask_b32_e32 v1, v1, v2, vcc
	v_mov_b32_e32 v2, 0
	ds_write_b32 v2, v1 offset:64
.LBB40_12:
	s_or_b64 exec, exec, s[2:3]
	s_waitcnt lgkmcnt(0)
	s_barrier
	s_and_saveexec_b64 s[2:3], s[0:1]
	s_cbranch_execz .LBB40_31
; %bb.13:
	s_load_dword s4, s[10:11], 0x0
	v_mov_b32_e32 v3, 0
	ds_read_b32 v7, v3 offset:64
	s_mov_b64 s[2:3], 0
	v_mov_b32_e32 v9, s13
	s_waitcnt lgkmcnt(0)
	v_div_scale_f32 v1, s[0:1], s4, s4, 1.0
	v_rcp_f32_e32 v2, v1
	v_div_scale_f32 v4, vcc, 1.0, s4, 1.0
	s_movk_i32 s13, 0x7fff
	v_fma_f32 v5, -v1, v2, 1.0
	v_fmac_f32_e32 v2, v5, v2
	v_mul_f32_e32 v5, v4, v2
	v_fma_f32 v8, -v1, v5, v4
	v_fmac_f32_e32 v5, v8, v2
	v_fma_f32 v1, -v1, v5, v4
	v_div_fmas_f32 v1, v1, v2, v5
	v_div_fixup_f32 v8, v1, s4, 1.0
	v_mov_b32_e32 v10, s9
	v_mov_b32_e32 v11, 0x7fc00000
	s_movk_i32 s9, 0x80
	s_mov_b64 s[4:5], 0x7f800000
	s_mov_b64 s[6:7], 0x43e00001
	s_movk_i32 s22, 0x79
	s_movk_i32 s23, 0x7f
	v_mov_b32_e32 v12, 0x78
	v_mov_b32_e32 v13, 0xffffff89
	s_branch .LBB40_15
.LBB40_14:                              ;   in Loop: Header=BB40_15 Depth=1
	s_or_b64 exec, exec, s[0:1]
	v_mov_b32_e32 v1, s15
	v_add_co_u32_e32 v4, vcc, s14, v2
	v_addc_co_u32_e32 v5, vcc, 0, v1, vcc
	v_add_u32_e32 v0, v0, v6
	v_cmp_le_i32_e32 vcc, s20, v0
	s_or_b64 s[2:3], vcc, s[2:3]
	global_store_byte v[4:5], v14, off
	s_andn2_b64 exec, exec, s[2:3]
	s_cbranch_execz .LBB40_31
.LBB40_15:                              ; =>This Inner Loop Header: Depth=1
	v_add_u32_e32 v2, s21, v0
	v_lshlrev_b64 v[4:5], 1, v[2:3]
	v_add_co_u32_e32 v4, vcc, s12, v4
	v_addc_co_u32_e32 v5, vcc, v9, v5, vcc
	global_load_ushort v14, v[4:5], off
	v_ashrrev_i32_e32 v1, 31, v0
	v_lshlrev_b64 v[4:5], 1, v[0:1]
	v_add_co_u32_e32 v4, vcc, s8, v4
	v_addc_co_u32_e32 v5, vcc, v10, v5, vcc
	global_load_ushort v1, v[4:5], off
	v_mov_b32_e32 v17, v3
	v_mov_b32_e32 v5, v3
	s_waitcnt vmcnt(1)
	v_lshlrev_b32_e32 v4, 16, v14
	v_mul_f32_e32 v4, v7, v4
	v_bfe_u32 v14, v4, 16, 1
	v_add3_u32 v14, v4, v14, s13
	v_and_b32_e32 v14, 0xffff0000, v14
	v_cmp_o_f32_e32 vcc, v4, v4
	v_cndmask_b32_e32 v4, v11, v14, vcc
	s_waitcnt vmcnt(0)
	v_lshlrev_b32_e32 v1, 16, v1
	v_mul_f32_e32 v1, v4, v1
	v_bfe_u32 v4, v1, 16, 1
	v_add3_u32 v4, v1, v4, s13
	v_and_b32_e32 v4, 0xffff0000, v4
	v_cmp_o_f32_e32 vcc, v1, v1
	v_cndmask_b32_e32 v1, v11, v4, vcc
	v_mul_f32_e32 v1, v8, v1
	v_min_f32_e32 v1, 0x43e00000, v1
	v_max_f32_e32 v15, 0xc3e00000, v1
	v_and_b32_sdwa v1, v15, s9 dst_sel:DWORD dst_unused:UNUSED_PAD src0_sel:BYTE_3 src1_sel:DWORD
	v_and_b32_e32 v16, 0x7f800000, v15
	v_and_b32_e32 v4, 0x7fffff, v15
	v_or_b32_e32 v14, 0x7e, v1
	v_cmp_ne_u64_e32 vcc, s[4:5], v[16:17]
	s_and_saveexec_b64 s[0:1], vcc
	s_xor_b64 s[10:11], exec, s[0:1]
	s_cbranch_execz .LBB40_29
; %bb.16:                               ;   in Loop: Header=BB40_15 Depth=1
	v_and_b32_e32 v16, 0x7fffffff, v15
	v_mov_b32_e32 v17, v3
	v_cmp_gt_u64_e32 vcc, s[6:7], v[16:17]
	s_and_saveexec_b64 s[0:1], vcc
	s_xor_b64 s[16:17], exec, s[0:1]
	s_cbranch_execz .LBB40_28
; %bb.17:                               ;   in Loop: Header=BB40_15 Depth=1
	v_cmp_ne_u32_e32 vcc, 0, v15
	v_mov_b32_e32 v14, 0
	s_and_saveexec_b64 s[18:19], vcc
	s_cbranch_execz .LBB40_27
; %bb.18:                               ;   in Loop: Header=BB40_15 Depth=1
	v_bfe_u32 v14, v15, 23, 8
	v_sub_u32_e64 v15, s22, v14 clamp
	v_cmp_eq_u32_e32 vcc, 0, v14
	v_cndmask_b32_e32 v19, v15, v12, vcc
	v_add_u32_e32 v18, 0xffffff88, v14
	v_add_u32_e32 v14, 20, v19
	v_or_b32_e32 v16, 0x800000, v4
	v_lshlrev_b64 v[14:15], v14, -1
	v_cndmask_b32_e32 v4, v16, v4, vcc
	v_not_b32_e32 v15, v15
	v_not_b32_e32 v14, v14
	v_add_u32_e32 v16, 19, v19
	v_and_b32_e32 v15, 0, v15
	v_and_b32_e32 v14, v4, v14
	v_lshlrev_b64 v[16:17], v16, 1
	v_lshrrev_b64 v[4:5], v19, v[4:5]
	v_cmp_eq_u64_e64 s[0:1], v[14:15], v[16:17]
	v_cndmask_b32_e32 v14, v18, v13, vcc
	v_lshrrev_b32_e32 v15, 23, v4
	v_add3_u32 v14, v14, v19, v15
	v_and_b32_e32 v18, 0x100000, v4
	v_mov_b32_e32 v19, v3
	v_cmp_eq_u64_e32 vcc, 0, v[18:19]
	s_and_b64 vcc, vcc, s[0:1]
	v_subbrev_co_u32_e32 v15, vcc, 0, v4, vcc
	v_and_b32_e32 v15, 0xfffff, v15
	v_add_co_u32_e32 v4, vcc, v15, v4
	v_add_u32_e32 v16, -1, v14
	v_addc_co_u32_e32 v5, vcc, 0, v5, vcc
	v_cmp_ne_u32_e32 vcc, 0, v16
                                        ; implicit-def: $vgpr15
	s_and_saveexec_b64 s[0:1], vcc
	s_xor_b64 s[0:1], exec, s[0:1]
; %bb.19:                               ;   in Loop: Header=BB40_15 Depth=1
	v_and_b32_e32 v18, 0x1000000, v4
	v_mov_b32_e32 v19, v3
	v_cmp_eq_u64_e32 vcc, 0, v[18:19]
	v_cndmask_b32_e32 v15, v14, v16, vcc
	v_bfe_u32 v14, v4, 24, 1
	v_lshrrev_b64 v[4:5], v14, v[4:5]
; %bb.20:                               ;   in Loop: Header=BB40_15 Depth=1
	s_andn2_saveexec_b64 s[0:1], s[0:1]
; %bb.21:                               ;   in Loop: Header=BB40_15 Depth=1
	v_bfe_u32 v15, v4, 23, 1
; %bb.22:                               ;   in Loop: Header=BB40_15 Depth=1
	s_or_b64 exec, exec, s[0:1]
	v_lshrrev_b64 v[4:5], 20, v[4:5]
	v_cmp_gt_i32_e32 vcc, 16, v15
	v_cndmask_b32_e32 v5, 0, v5, vcc
	v_cndmask_b32_e32 v4, 7, v4, vcc
	v_cmp_ne_u32_e32 vcc, 0, v15
	v_cmp_ne_u64_e64 s[0:1], 0, v[4:5]
	s_or_b64 s[0:1], vcc, s[0:1]
                                        ; implicit-def: $vgpr14
	s_and_saveexec_b64 s[24:25], s[0:1]
	s_xor_b64 s[0:1], exec, s[24:25]
; %bb.23:                               ;   in Loop: Header=BB40_15 Depth=1
	v_min_i32_e32 v5, 15, v15
	v_lshl_or_b32 v1, v5, 3, v1
	v_and_or_b32 v14, v4, 7, v1
                                        ; implicit-def: $vgpr1
; %bb.24:                               ;   in Loop: Header=BB40_15 Depth=1
	s_andn2_saveexec_b64 s[0:1], s[0:1]
; %bb.25:                               ;   in Loop: Header=BB40_15 Depth=1
	v_mov_b32_e32 v14, v1
; %bb.26:                               ;   in Loop: Header=BB40_15 Depth=1
	s_or_b64 exec, exec, s[0:1]
.LBB40_27:                              ;   in Loop: Header=BB40_15 Depth=1
	s_or_b64 exec, exec, s[18:19]
.LBB40_28:                              ;   in Loop: Header=BB40_15 Depth=1
	s_andn2_saveexec_b64 s[0:1], s[16:17]
	s_or_b64 exec, exec, s[0:1]
                                        ; implicit-def: $vgpr15
                                        ; implicit-def: $vgpr4_vgpr5
.LBB40_29:                              ;   in Loop: Header=BB40_15 Depth=1
	s_andn2_saveexec_b64 s[0:1], s[10:11]
	s_cbranch_execz .LBB40_14
; %bb.30:                               ;   in Loop: Header=BB40_15 Depth=1
	v_or_b32_sdwa v1, v15, s23 dst_sel:DWORD dst_unused:UNUSED_PAD src0_sel:BYTE_3 src1_sel:DWORD
	v_cmp_eq_u64_e32 vcc, 0, v[4:5]
	v_cndmask_b32_e32 v14, v1, v14, vcc
	s_branch .LBB40_14
.LBB40_31:
	s_endpgm
	.section	.rodata,"a",@progbits
	.p2align	6, 0x0
	.amdhsa_kernel _ZN4vllm42fused_add_rms_norm_static_fp8_quant_kernelIN3c108BFloat16ELi0ENS1_13Float8_e4m3fnEEENSt9enable_ifIXooeqT0_Li0Entsr12_typeConvertIT_EE6existsEvE4typeEPT1_PS5_iSA_PKS5_PKffii
		.amdhsa_group_segment_fixed_size 68
		.amdhsa_private_segment_fixed_size 0
		.amdhsa_kernarg_size 320
		.amdhsa_user_sgpr_count 6
		.amdhsa_user_sgpr_private_segment_buffer 1
		.amdhsa_user_sgpr_dispatch_ptr 0
		.amdhsa_user_sgpr_queue_ptr 0
		.amdhsa_user_sgpr_kernarg_segment_ptr 1
		.amdhsa_user_sgpr_dispatch_id 0
		.amdhsa_user_sgpr_flat_scratch_init 0
		.amdhsa_user_sgpr_kernarg_preload_length 0
		.amdhsa_user_sgpr_kernarg_preload_offset 0
		.amdhsa_user_sgpr_private_segment_size 0
		.amdhsa_uses_dynamic_stack 0
		.amdhsa_system_sgpr_private_segment_wavefront_offset 0
		.amdhsa_system_sgpr_workgroup_id_x 1
		.amdhsa_system_sgpr_workgroup_id_y 0
		.amdhsa_system_sgpr_workgroup_id_z 0
		.amdhsa_system_sgpr_workgroup_info 0
		.amdhsa_system_vgpr_workitem_id 0
		.amdhsa_next_free_vgpr 20
		.amdhsa_next_free_sgpr 26
		.amdhsa_accum_offset 20
		.amdhsa_reserve_vcc 1
		.amdhsa_reserve_flat_scratch 0
		.amdhsa_float_round_mode_32 0
		.amdhsa_float_round_mode_16_64 0
		.amdhsa_float_denorm_mode_32 3
		.amdhsa_float_denorm_mode_16_64 3
		.amdhsa_dx10_clamp 1
		.amdhsa_ieee_mode 1
		.amdhsa_fp16_overflow 0
		.amdhsa_tg_split 0
		.amdhsa_exception_fp_ieee_invalid_op 0
		.amdhsa_exception_fp_denorm_src 0
		.amdhsa_exception_fp_ieee_div_zero 0
		.amdhsa_exception_fp_ieee_overflow 0
		.amdhsa_exception_fp_ieee_underflow 0
		.amdhsa_exception_fp_ieee_inexact 0
		.amdhsa_exception_int_div_zero 0
	.end_amdhsa_kernel
	.section	.text._ZN4vllm42fused_add_rms_norm_static_fp8_quant_kernelIN3c108BFloat16ELi0ENS1_13Float8_e4m3fnEEENSt9enable_ifIXooeqT0_Li0Entsr12_typeConvertIT_EE6existsEvE4typeEPT1_PS5_iSA_PKS5_PKffii,"axG",@progbits,_ZN4vllm42fused_add_rms_norm_static_fp8_quant_kernelIN3c108BFloat16ELi0ENS1_13Float8_e4m3fnEEENSt9enable_ifIXooeqT0_Li0Entsr12_typeConvertIT_EE6existsEvE4typeEPT1_PS5_iSA_PKS5_PKffii,comdat
.Lfunc_end40:
	.size	_ZN4vllm42fused_add_rms_norm_static_fp8_quant_kernelIN3c108BFloat16ELi0ENS1_13Float8_e4m3fnEEENSt9enable_ifIXooeqT0_Li0Entsr12_typeConvertIT_EE6existsEvE4typeEPT1_PS5_iSA_PKS5_PKffii, .Lfunc_end40-_ZN4vllm42fused_add_rms_norm_static_fp8_quant_kernelIN3c108BFloat16ELi0ENS1_13Float8_e4m3fnEEENSt9enable_ifIXooeqT0_Li0Entsr12_typeConvertIT_EE6existsEvE4typeEPT1_PS5_iSA_PKS5_PKffii
                                        ; -- End function
	.section	.AMDGPU.csdata,"",@progbits
; Kernel info:
; codeLenInByte = 1988
; NumSgprs: 30
; NumVgprs: 20
; NumAgprs: 0
; TotalNumVgprs: 20
; ScratchSize: 0
; MemoryBound: 0
; FloatMode: 240
; IeeeMode: 1
; LDSByteSize: 68 bytes/workgroup (compile time only)
; SGPRBlocks: 3
; VGPRBlocks: 2
; NumSGPRsForWavesPerEU: 30
; NumVGPRsForWavesPerEU: 20
; AccumOffset: 20
; Occupancy: 8
; WaveLimiterHint : 0
; COMPUTE_PGM_RSRC2:SCRATCH_EN: 0
; COMPUTE_PGM_RSRC2:USER_SGPR: 6
; COMPUTE_PGM_RSRC2:TRAP_HANDLER: 0
; COMPUTE_PGM_RSRC2:TGID_X_EN: 1
; COMPUTE_PGM_RSRC2:TGID_Y_EN: 0
; COMPUTE_PGM_RSRC2:TGID_Z_EN: 0
; COMPUTE_PGM_RSRC2:TIDIG_COMP_CNT: 0
; COMPUTE_PGM_RSRC3_GFX90A:ACCUM_OFFSET: 4
; COMPUTE_PGM_RSRC3_GFX90A:TG_SPLIT: 0
	.section	.text._ZN4vllm42fused_add_rms_norm_static_fp8_quant_kernelIN3c108BFloat16ELi0ENS1_15Float8_e4m3fnuzEEENSt9enable_ifIXooeqT0_Li0Entsr12_typeConvertIT_EE6existsEvE4typeEPT1_PS5_iSA_PKS5_PKffii,"axG",@progbits,_ZN4vllm42fused_add_rms_norm_static_fp8_quant_kernelIN3c108BFloat16ELi0ENS1_15Float8_e4m3fnuzEEENSt9enable_ifIXooeqT0_Li0Entsr12_typeConvertIT_EE6existsEvE4typeEPT1_PS5_iSA_PKS5_PKffii,comdat
	.protected	_ZN4vllm42fused_add_rms_norm_static_fp8_quant_kernelIN3c108BFloat16ELi0ENS1_15Float8_e4m3fnuzEEENSt9enable_ifIXooeqT0_Li0Entsr12_typeConvertIT_EE6existsEvE4typeEPT1_PS5_iSA_PKS5_PKffii ; -- Begin function _ZN4vllm42fused_add_rms_norm_static_fp8_quant_kernelIN3c108BFloat16ELi0ENS1_15Float8_e4m3fnuzEEENSt9enable_ifIXooeqT0_Li0Entsr12_typeConvertIT_EE6existsEvE4typeEPT1_PS5_iSA_PKS5_PKffii
	.globl	_ZN4vllm42fused_add_rms_norm_static_fp8_quant_kernelIN3c108BFloat16ELi0ENS1_15Float8_e4m3fnuzEEENSt9enable_ifIXooeqT0_Li0Entsr12_typeConvertIT_EE6existsEvE4typeEPT1_PS5_iSA_PKS5_PKffii
	.p2align	8
	.type	_ZN4vllm42fused_add_rms_norm_static_fp8_quant_kernelIN3c108BFloat16ELi0ENS1_15Float8_e4m3fnuzEEENSt9enable_ifIXooeqT0_Li0Entsr12_typeConvertIT_EE6existsEvE4typeEPT1_PS5_iSA_PKS5_PKffii,@function
_ZN4vllm42fused_add_rms_norm_static_fp8_quant_kernelIN3c108BFloat16ELi0ENS1_15Float8_e4m3fnuzEEENSt9enable_ifIXooeqT0_Li0Entsr12_typeConvertIT_EE6existsEvE4typeEPT1_PS5_iSA_PKS5_PKffii: ; @_ZN4vllm42fused_add_rms_norm_static_fp8_quant_kernelIN3c108BFloat16ELi0ENS1_15Float8_e4m3fnuzEEENSt9enable_ifIXooeqT0_Li0Entsr12_typeConvertIT_EE6existsEvE4typeEPT1_PS5_iSA_PKS5_PKffii
; %bb.0:
	s_load_dword s20, s[4:5], 0x38
	s_load_dwordx2 s[12:13], s[4:5], 0x18
                                        ; implicit-def: $sgpr16
                                        ; implicit-def: $sgpr7
	s_waitcnt lgkmcnt(0)
	v_cmp_gt_i32_e64 s[0:1], s20, v0
	v_cmp_le_i32_e32 vcc, s20, v0
	s_and_saveexec_b64 s[2:3], vcc
	s_xor_b64 s[2:3], exec, s[2:3]
	s_cbranch_execz .LBB41_2
; %bb.1:
	s_load_dword s7, s[4:5], 0x4c
	s_mov_b32 s16, 0
	s_waitcnt lgkmcnt(0)
	s_and_b32 s7, s7, 0xffff
.LBB41_2:
	s_or_saveexec_b64 s[2:3], s[2:3]
	s_load_dwordx2 s[14:15], s[4:5], 0x0
	s_load_dwordx4 s[8:11], s[4:5], 0x20
	v_mov_b32_e32 v4, s16
	v_mov_b32_e32 v6, s7
	s_mul_i32 s21, s6, s20
	s_xor_b64 exec, exec, s[2:3]
	s_cbranch_execz .LBB41_6
; %bb.3:
	s_load_dword s7, s[4:5], 0x10
	s_load_dword s22, s[4:5], 0x4c
	s_load_dwordx2 s[16:17], s[4:5], 0x8
	s_mov_b64 s[18:19], 0
	v_mov_b32_e32 v3, 0
	s_waitcnt lgkmcnt(0)
	s_mul_i32 s7, s6, s7
	s_and_b32 s6, s22, 0xffff
	v_mov_b32_e32 v1, s17
	v_mov_b32_e32 v5, s13
	s_movk_i32 s17, 0x7fff
	v_mov_b32_e32 v6, 0x7fc0
	v_mov_b32_e32 v4, 0
	;; [unrolled: 1-line block ×3, first 2 shown]
.LBB41_4:                               ; =>This Inner Loop Header: Depth=1
	v_add_u32_e32 v2, s7, v7
	v_lshlrev_b64 v[8:9], 1, v[2:3]
	v_add_u32_e32 v2, s21, v7
	v_add_co_u32_e32 v8, vcc, s16, v8
	v_addc_co_u32_e32 v9, vcc, v1, v9, vcc
	v_lshlrev_b64 v[10:11], 1, v[2:3]
	v_add_co_u32_e32 v10, vcc, s12, v10
	v_addc_co_u32_e32 v11, vcc, v5, v11, vcc
	global_load_ushort v2, v[8:9], off
	global_load_ushort v12, v[10:11], off
	v_add_u32_e32 v7, s6, v7
	v_cmp_le_i32_e32 vcc, s20, v7
	s_or_b64 s[18:19], vcc, s[18:19]
	s_waitcnt vmcnt(1)
	v_lshlrev_b32_e32 v2, 16, v2
	s_waitcnt vmcnt(0)
	v_lshlrev_b32_e32 v8, 16, v12
	v_add_f32_e32 v2, v8, v2
	v_bfe_u32 v8, v2, 16, 1
	v_add3_u32 v8, v2, v8, s17
	v_lshrrev_b32_e32 v8, 16, v8
	v_cmp_o_f32_e32 vcc, v2, v2
	v_cndmask_b32_e32 v2, v6, v8, vcc
	v_lshlrev_b32_e32 v8, 16, v2
	v_fmac_f32_e32 v4, v8, v8
	global_store_short v[10:11], v2, off
	s_andn2_b64 exec, exec, s[18:19]
	s_cbranch_execnz .LBB41_4
; %bb.5:
	s_or_b64 exec, exec, s[18:19]
	v_mov_b32_e32 v6, s6
.LBB41_6:
	s_or_b64 exec, exec, s[2:3]
	v_mbcnt_lo_u32_b32 v1, -1, 0
	v_mbcnt_hi_u32_b32 v1, -1, v1
	v_and_b32_e32 v2, 63, v1
	v_cmp_ne_u32_e32 vcc, 63, v2
	v_addc_co_u32_e32 v3, vcc, 0, v1, vcc
	v_lshlrev_b32_e32 v3, 2, v3
	ds_bpermute_b32 v3, v3, v4
	v_and_b32_e32 v5, 0x3c0, v0
	v_sub_u32_e64 v5, v6, v5 clamp
	v_add_u32_e32 v7, 1, v1
	v_cmp_lt_u32_e32 vcc, v7, v5
	s_waitcnt lgkmcnt(0)
	v_add_f32_e32 v3, v4, v3
	v_cndmask_b32_e32 v3, v4, v3, vcc
	v_cmp_gt_u32_e32 vcc, 62, v2
	v_cndmask_b32_e64 v4, 0, 1, vcc
	v_lshlrev_b32_e32 v4, 1, v4
	v_add_lshl_u32 v4, v4, v1, 2
	ds_bpermute_b32 v4, v4, v3
	v_add_u32_e32 v7, 2, v1
	v_cmp_lt_u32_e32 vcc, v7, v5
	v_add_u32_e32 v7, 4, v1
	s_waitcnt lgkmcnt(0)
	v_add_f32_e32 v4, v3, v4
	v_cndmask_b32_e32 v3, v3, v4, vcc
	v_cmp_gt_u32_e32 vcc, 60, v2
	v_cndmask_b32_e64 v4, 0, 1, vcc
	v_lshlrev_b32_e32 v4, 2, v4
	v_add_lshl_u32 v4, v4, v1, 2
	ds_bpermute_b32 v4, v4, v3
	v_cmp_lt_u32_e32 vcc, v7, v5
	v_add_u32_e32 v7, 8, v1
	s_waitcnt lgkmcnt(0)
	v_add_f32_e32 v4, v3, v4
	v_cndmask_b32_e32 v3, v3, v4, vcc
	v_cmp_gt_u32_e32 vcc, 56, v2
	v_cndmask_b32_e64 v4, 0, 1, vcc
	v_lshlrev_b32_e32 v4, 3, v4
	v_add_lshl_u32 v4, v4, v1, 2
	ds_bpermute_b32 v4, v4, v3
	;; [unrolled: 10-line block ×3, first 2 shown]
	v_cmp_lt_u32_e32 vcc, v7, v5
	s_waitcnt lgkmcnt(0)
	v_add_f32_e32 v4, v3, v4
	v_cndmask_b32_e32 v3, v3, v4, vcc
	v_cmp_gt_u32_e32 vcc, 32, v2
	v_cndmask_b32_e64 v2, 0, 1, vcc
	v_lshlrev_b32_e32 v2, 5, v2
	v_add_lshl_u32 v2, v2, v1, 2
	ds_bpermute_b32 v2, v2, v3
	v_add_u32_e32 v4, 32, v1
	v_cmp_lt_u32_e32 vcc, v4, v5
	s_waitcnt lgkmcnt(0)
	v_add_f32_e32 v2, v3, v2
	v_cndmask_b32_e32 v2, v3, v2, vcc
	v_cmp_eq_u32_e32 vcc, 0, v1
	s_and_saveexec_b64 s[2:3], vcc
	s_cbranch_execz .LBB41_8
; %bb.7:
	v_lshrrev_b32_e32 v3, 4, v0
	v_and_b32_e32 v3, 60, v3
	ds_write_b32 v3, v2
.LBB41_8:
	s_or_b64 exec, exec, s[2:3]
	v_cmp_gt_u32_e32 vcc, 16, v0
	s_waitcnt lgkmcnt(0)
	s_barrier
	s_and_saveexec_b64 s[6:7], vcc
	s_cbranch_execz .LBB41_10
; %bb.9:
	v_lshlrev_b32_e32 v2, 2, v1
	ds_read_b32 v2, v2
	v_and_b32_e32 v3, 15, v1
	v_cmp_ne_u32_e32 vcc, 15, v3
	v_addc_co_u32_e32 v4, vcc, 0, v1, vcc
	v_lshlrev_b32_e32 v4, 2, v4
	s_waitcnt lgkmcnt(0)
	ds_bpermute_b32 v4, v4, v2
	v_add_u32_e32 v5, 63, v6
	v_lshrrev_b32_e32 v5, 6, v5
	v_add_u32_e32 v7, 1, v3
	v_cmp_gt_u32_e64 s[2:3], 14, v3
	v_cmp_lt_u32_e32 vcc, v7, v5
	v_cndmask_b32_e64 v7, 0, 1, s[2:3]
	s_waitcnt lgkmcnt(0)
	v_add_f32_e32 v4, v2, v4
	v_lshlrev_b32_e32 v7, 1, v7
	v_cndmask_b32_e32 v4, v2, v4, vcc
	v_add_lshl_u32 v7, v7, v1, 2
	ds_bpermute_b32 v7, v7, v4
	v_add_u32_e32 v8, 2, v3
	v_cmp_lt_u32_e64 s[2:3], v8, v5
	v_add_u32_e32 v8, 4, v3
	s_waitcnt lgkmcnt(0)
	v_add_f32_e32 v7, v4, v7
	v_cndmask_b32_e64 v4, v4, v7, s[2:3]
	v_cmp_gt_u32_e64 s[2:3], 12, v3
	v_cndmask_b32_e64 v7, 0, 1, s[2:3]
	v_lshlrev_b32_e32 v7, 2, v7
	v_add_lshl_u32 v7, v7, v1, 2
	ds_bpermute_b32 v7, v7, v4
	v_cmp_lt_u32_e64 s[2:3], v8, v5
	s_waitcnt lgkmcnt(0)
	v_add_f32_e32 v7, v4, v7
	v_cndmask_b32_e64 v4, v4, v7, s[2:3]
	v_cmp_gt_u32_e64 s[2:3], 8, v3
	v_cndmask_b32_e64 v7, 0, 1, s[2:3]
	v_lshlrev_b32_e32 v7, 3, v7
	v_add_lshl_u32 v1, v7, v1, 2
	ds_bpermute_b32 v1, v1, v4
	v_add_u32_e32 v3, 8, v3
	v_cmp_lt_u32_e64 s[2:3], v3, v5
	s_waitcnt lgkmcnt(0)
	v_add_f32_e32 v1, v4, v1
	v_cndmask_b32_e64 v1, v4, v1, s[2:3]
	v_cndmask_b32_e32 v2, v2, v1, vcc
.LBB41_10:
	s_or_b64 exec, exec, s[6:7]
	v_cmp_eq_u32_e32 vcc, 0, v0
	s_and_saveexec_b64 s[2:3], vcc
	s_cbranch_execz .LBB41_12
; %bb.11:
	v_cvt_f32_i32_e32 v1, s20
	s_load_dword s6, s[4:5], 0x30
	v_div_scale_f32 v3, s[4:5], v1, v1, v2
	v_rcp_f32_e32 v4, v3
	v_div_scale_f32 v5, vcc, v2, v1, v2
	s_mov_b32 s4, 0x800000
	v_fma_f32 v7, -v3, v4, 1.0
	v_fmac_f32_e32 v4, v7, v4
	v_mul_f32_e32 v7, v5, v4
	v_fma_f32 v8, -v3, v7, v5
	v_fmac_f32_e32 v7, v8, v4
	v_fma_f32 v3, -v3, v7, v5
	v_div_fmas_f32 v3, v3, v4, v7
	v_div_fixup_f32 v1, v3, v1, v2
	s_waitcnt lgkmcnt(0)
	v_add_f32_e32 v1, s6, v1
	v_mul_f32_e32 v2, 0x4b800000, v1
	v_cmp_gt_f32_e32 vcc, s4, v1
	v_cndmask_b32_e32 v1, v1, v2, vcc
	v_rsq_f32_e32 v1, v1
	v_mul_f32_e32 v2, 0x45800000, v1
	v_cndmask_b32_e32 v1, v1, v2, vcc
	v_mov_b32_e32 v2, 0
	ds_write_b32 v2, v1 offset:64
.LBB41_12:
	s_or_b64 exec, exec, s[2:3]
	s_waitcnt lgkmcnt(0)
	s_barrier
	s_and_saveexec_b64 s[2:3], s[0:1]
	s_cbranch_execz .LBB41_25
; %bb.13:
	s_load_dword s4, s[10:11], 0x0
	v_mov_b32_e32 v3, 0
	ds_read_b32 v7, v3 offset:64
	s_mov_b64 s[2:3], 0
	v_mov_b32_e32 v9, s13
	s_waitcnt lgkmcnt(0)
	v_div_scale_f32 v1, s[0:1], s4, s4, 1.0
	v_rcp_f32_e32 v2, v1
	v_div_scale_f32 v4, vcc, 1.0, s4, 1.0
	s_movk_i32 s13, 0x7fff
	v_fma_f32 v5, -v1, v2, 1.0
	v_fmac_f32_e32 v2, v5, v2
	v_mul_f32_e32 v5, v4, v2
	v_fma_f32 v8, -v1, v5, v4
	v_fmac_f32_e32 v5, v8, v2
	v_fma_f32 v1, -v1, v5, v4
	v_div_fmas_f32 v1, v1, v2, v5
	v_div_fixup_f32 v8, v1, s4, 1.0
	v_mov_b32_e32 v10, s9
	v_mov_b32_e32 v11, 0x7fc00000
	s_movk_i32 s9, 0x7f
	s_mov_b64 s[4:5], 0x7f800000
	s_mov_b64 s[6:7], 0x43700001
	s_movk_i32 s22, 0x78
	s_movk_i32 s23, 0x80
	v_mov_b32_e32 v12, 0x77
	v_mov_b32_e32 v13, 0xffffff8a
	s_branch .LBB41_18
.LBB41_14:                              ;   in Loop: Header=BB41_18 Depth=1
	s_or_b64 exec, exec, s[0:1]
	v_lshrrev_b64 v[4:5], 20, v[4:5]
	v_cmp_gt_i32_e32 vcc, 16, v14
	v_and_b32_sdwa v1, v1, s23 dst_sel:DWORD dst_unused:UNUSED_PAD src0_sel:BYTE_3 src1_sel:DWORD
	v_min_i32_e32 v15, 15, v14
	v_cndmask_b32_e32 v5, 0, v5, vcc
	v_cndmask_b32_e32 v4, 7, v4, vcc
	v_cmp_eq_u32_e32 vcc, 0, v14
	v_cmp_eq_u64_e64 s[0:1], 0, v[4:5]
	v_lshl_or_b32 v1, v15, 3, v1
	v_and_or_b32 v1, v4, 7, v1
	s_and_b64 s[0:1], vcc, s[0:1]
	v_cndmask_b32_e64 v4, v1, 0, s[0:1]
.LBB41_15:                              ;   in Loop: Header=BB41_18 Depth=1
	s_or_b64 exec, exec, s[18:19]
.LBB41_16:                              ;   in Loop: Header=BB41_18 Depth=1
	s_andn2_saveexec_b64 s[0:1], s[16:17]
	s_or_b64 exec, exec, s[0:1]
.LBB41_17:                              ;   in Loop: Header=BB41_18 Depth=1
	s_andn2_saveexec_b64 s[0:1], s[10:11]
	s_or_b64 exec, exec, s[0:1]
	v_mov_b32_e32 v1, s15
	v_add_co_u32_e32 v14, vcc, s14, v2
	v_addc_co_u32_e32 v15, vcc, 0, v1, vcc
	v_add_u32_e32 v0, v0, v6
	v_cmp_le_i32_e32 vcc, s20, v0
	s_or_b64 s[2:3], vcc, s[2:3]
	global_store_byte v[14:15], v4, off
	s_andn2_b64 exec, exec, s[2:3]
	s_cbranch_execz .LBB41_25
.LBB41_18:                              ; =>This Inner Loop Header: Depth=1
	v_add_u32_e32 v2, s21, v0
	v_lshlrev_b64 v[4:5], 1, v[2:3]
	v_add_co_u32_e32 v4, vcc, s12, v4
	v_addc_co_u32_e32 v5, vcc, v9, v5, vcc
	global_load_ushort v14, v[4:5], off
	v_ashrrev_i32_e32 v1, 31, v0
	v_lshlrev_b64 v[4:5], 1, v[0:1]
	v_add_co_u32_e32 v4, vcc, s8, v4
	v_addc_co_u32_e32 v5, vcc, v10, v5, vcc
	global_load_ushort v1, v[4:5], off
	v_mov_b32_e32 v15, v3
	s_waitcnt vmcnt(1)
	v_lshlrev_b32_e32 v4, 16, v14
	v_mul_f32_e32 v4, v7, v4
	v_bfe_u32 v5, v4, 16, 1
	v_add3_u32 v5, v4, v5, s13
	v_and_b32_e32 v5, 0xffff0000, v5
	v_cmp_o_f32_e32 vcc, v4, v4
	v_cndmask_b32_e32 v4, v11, v5, vcc
	s_waitcnt vmcnt(0)
	v_lshlrev_b32_e32 v1, 16, v1
	v_mul_f32_e32 v1, v4, v1
	v_bfe_u32 v4, v1, 16, 1
	v_add3_u32 v4, v1, v4, s13
	v_and_b32_e32 v4, 0xffff0000, v4
	v_cmp_o_f32_e32 vcc, v1, v1
	v_cndmask_b32_e32 v1, v11, v4, vcc
	v_mul_f32_e32 v1, v8, v1
	v_min_f32_e32 v1, 0x43600000, v1
	v_max_f32_e32 v1, 0xc3600000, v1
	v_and_b32_e32 v14, 0x7f800000, v1
	v_or_b32_sdwa v4, v1, s9 dst_sel:DWORD dst_unused:UNUSED_PAD src0_sel:BYTE_3 src1_sel:DWORD
	v_cmp_ne_u64_e32 vcc, s[4:5], v[14:15]
	s_and_saveexec_b64 s[0:1], vcc
	s_xor_b64 s[10:11], exec, s[0:1]
	s_cbranch_execz .LBB41_17
; %bb.19:                               ;   in Loop: Header=BB41_18 Depth=1
	v_and_b32_e32 v14, 0x7fffffff, v1
	v_mov_b32_e32 v15, v3
	v_cmp_gt_u64_e32 vcc, s[6:7], v[14:15]
	s_and_saveexec_b64 s[0:1], vcc
	s_xor_b64 s[16:17], exec, s[0:1]
	s_cbranch_execz .LBB41_16
; %bb.20:                               ;   in Loop: Header=BB41_18 Depth=1
	v_cmp_ne_u32_e32 vcc, 0, v1
	v_mov_b32_e32 v4, 0
	s_and_saveexec_b64 s[18:19], vcc
	s_cbranch_execz .LBB41_15
; %bb.21:                               ;   in Loop: Header=BB41_18 Depth=1
	v_bfe_u32 v5, v1, 23, 8
	v_sub_u32_e64 v14, s22, v5 clamp
	v_cmp_eq_u32_e32 vcc, 0, v5
	v_and_b32_e32 v4, 0x7fffff, v1
	v_cndmask_b32_e32 v19, v14, v12, vcc
	v_or_b32_e32 v15, 0x800000, v4
	v_add_u32_e32 v14, 20, v19
	v_cndmask_b32_e32 v4, v15, v4, vcc
	v_lshlrev_b64 v[14:15], v14, -1
	v_add_u32_e32 v18, 0xffffff89, v5
	v_mov_b32_e32 v5, v3
	v_not_b32_e32 v14, v14
	v_add_u32_e32 v16, 19, v19
	v_and_b32_e32 v14, v4, v14
	v_mov_b32_e32 v15, v3
	v_lshlrev_b64 v[16:17], v16, 1
	v_lshrrev_b64 v[4:5], v19, v[4:5]
	v_cmp_eq_u64_e64 s[0:1], v[14:15], v[16:17]
	v_cndmask_b32_e32 v14, v18, v13, vcc
	v_lshrrev_b32_e32 v15, 23, v4
	v_add3_u32 v15, v14, v19, v15
	v_and_b32_e32 v18, 0x100000, v4
	v_mov_b32_e32 v19, v3
	v_cmp_eq_u64_e32 vcc, 0, v[18:19]
	s_and_b64 vcc, vcc, s[0:1]
	v_subbrev_co_u32_e32 v14, vcc, 0, v4, vcc
	v_and_b32_e32 v14, 0xfffff, v14
	v_add_co_u32_e32 v4, vcc, v14, v4
	v_add_u32_e32 v16, -1, v15
	v_addc_co_u32_e32 v5, vcc, 0, v5, vcc
	v_cmp_ne_u32_e32 vcc, 0, v16
                                        ; implicit-def: $vgpr14
	s_and_saveexec_b64 s[0:1], vcc
	s_xor_b64 s[0:1], exec, s[0:1]
; %bb.22:                               ;   in Loop: Header=BB41_18 Depth=1
	v_and_b32_e32 v18, 0x1000000, v4
	v_mov_b32_e32 v19, v3
	v_cmp_eq_u64_e32 vcc, 0, v[18:19]
	v_cndmask_b32_e32 v14, v15, v16, vcc
	v_bfe_u32 v15, v4, 24, 1
	v_lshrrev_b64 v[4:5], v15, v[4:5]
; %bb.23:                               ;   in Loop: Header=BB41_18 Depth=1
	s_andn2_saveexec_b64 s[0:1], s[0:1]
	s_cbranch_execz .LBB41_14
; %bb.24:                               ;   in Loop: Header=BB41_18 Depth=1
	v_bfe_u32 v14, v4, 23, 1
	s_branch .LBB41_14
.LBB41_25:
	s_endpgm
	.section	.rodata,"a",@progbits
	.p2align	6, 0x0
	.amdhsa_kernel _ZN4vllm42fused_add_rms_norm_static_fp8_quant_kernelIN3c108BFloat16ELi0ENS1_15Float8_e4m3fnuzEEENSt9enable_ifIXooeqT0_Li0Entsr12_typeConvertIT_EE6existsEvE4typeEPT1_PS5_iSA_PKS5_PKffii
		.amdhsa_group_segment_fixed_size 68
		.amdhsa_private_segment_fixed_size 0
		.amdhsa_kernarg_size 320
		.amdhsa_user_sgpr_count 6
		.amdhsa_user_sgpr_private_segment_buffer 1
		.amdhsa_user_sgpr_dispatch_ptr 0
		.amdhsa_user_sgpr_queue_ptr 0
		.amdhsa_user_sgpr_kernarg_segment_ptr 1
		.amdhsa_user_sgpr_dispatch_id 0
		.amdhsa_user_sgpr_flat_scratch_init 0
		.amdhsa_user_sgpr_kernarg_preload_length 0
		.amdhsa_user_sgpr_kernarg_preload_offset 0
		.amdhsa_user_sgpr_private_segment_size 0
		.amdhsa_uses_dynamic_stack 0
		.amdhsa_system_sgpr_private_segment_wavefront_offset 0
		.amdhsa_system_sgpr_workgroup_id_x 1
		.amdhsa_system_sgpr_workgroup_id_y 0
		.amdhsa_system_sgpr_workgroup_id_z 0
		.amdhsa_system_sgpr_workgroup_info 0
		.amdhsa_system_vgpr_workitem_id 0
		.amdhsa_next_free_vgpr 20
		.amdhsa_next_free_sgpr 24
		.amdhsa_accum_offset 20
		.amdhsa_reserve_vcc 1
		.amdhsa_reserve_flat_scratch 0
		.amdhsa_float_round_mode_32 0
		.amdhsa_float_round_mode_16_64 0
		.amdhsa_float_denorm_mode_32 3
		.amdhsa_float_denorm_mode_16_64 3
		.amdhsa_dx10_clamp 1
		.amdhsa_ieee_mode 1
		.amdhsa_fp16_overflow 0
		.amdhsa_tg_split 0
		.amdhsa_exception_fp_ieee_invalid_op 0
		.amdhsa_exception_fp_denorm_src 0
		.amdhsa_exception_fp_ieee_div_zero 0
		.amdhsa_exception_fp_ieee_overflow 0
		.amdhsa_exception_fp_ieee_underflow 0
		.amdhsa_exception_fp_ieee_inexact 0
		.amdhsa_exception_int_div_zero 0
	.end_amdhsa_kernel
	.section	.text._ZN4vllm42fused_add_rms_norm_static_fp8_quant_kernelIN3c108BFloat16ELi0ENS1_15Float8_e4m3fnuzEEENSt9enable_ifIXooeqT0_Li0Entsr12_typeConvertIT_EE6existsEvE4typeEPT1_PS5_iSA_PKS5_PKffii,"axG",@progbits,_ZN4vllm42fused_add_rms_norm_static_fp8_quant_kernelIN3c108BFloat16ELi0ENS1_15Float8_e4m3fnuzEEENSt9enable_ifIXooeqT0_Li0Entsr12_typeConvertIT_EE6existsEvE4typeEPT1_PS5_iSA_PKS5_PKffii,comdat
.Lfunc_end41:
	.size	_ZN4vllm42fused_add_rms_norm_static_fp8_quant_kernelIN3c108BFloat16ELi0ENS1_15Float8_e4m3fnuzEEENSt9enable_ifIXooeqT0_Li0Entsr12_typeConvertIT_EE6existsEvE4typeEPT1_PS5_iSA_PKS5_PKffii, .Lfunc_end41-_ZN4vllm42fused_add_rms_norm_static_fp8_quant_kernelIN3c108BFloat16ELi0ENS1_15Float8_e4m3fnuzEEENSt9enable_ifIXooeqT0_Li0Entsr12_typeConvertIT_EE6existsEvE4typeEPT1_PS5_iSA_PKS5_PKffii
                                        ; -- End function
	.section	.AMDGPU.csdata,"",@progbits
; Kernel info:
; codeLenInByte = 1956
; NumSgprs: 28
; NumVgprs: 20
; NumAgprs: 0
; TotalNumVgprs: 20
; ScratchSize: 0
; MemoryBound: 0
; FloatMode: 240
; IeeeMode: 1
; LDSByteSize: 68 bytes/workgroup (compile time only)
; SGPRBlocks: 3
; VGPRBlocks: 2
; NumSGPRsForWavesPerEU: 28
; NumVGPRsForWavesPerEU: 20
; AccumOffset: 20
; Occupancy: 8
; WaveLimiterHint : 0
; COMPUTE_PGM_RSRC2:SCRATCH_EN: 0
; COMPUTE_PGM_RSRC2:USER_SGPR: 6
; COMPUTE_PGM_RSRC2:TRAP_HANDLER: 0
; COMPUTE_PGM_RSRC2:TGID_X_EN: 1
; COMPUTE_PGM_RSRC2:TGID_Y_EN: 0
; COMPUTE_PGM_RSRC2:TGID_Z_EN: 0
; COMPUTE_PGM_RSRC2:TIDIG_COMP_CNT: 0
; COMPUTE_PGM_RSRC3_GFX90A:ACCUM_OFFSET: 4
; COMPUTE_PGM_RSRC3_GFX90A:TG_SPLIT: 0
	.text
	.p2alignl 6, 3212836864
	.fill 256, 4, 3212836864
	.type	__hip_cuid_d8d04a2f7c4a8a30,@object ; @__hip_cuid_d8d04a2f7c4a8a30
	.section	.bss,"aw",@nobits
	.globl	__hip_cuid_d8d04a2f7c4a8a30
__hip_cuid_d8d04a2f7c4a8a30:
	.byte	0                               ; 0x0
	.size	__hip_cuid_d8d04a2f7c4a8a30, 1

	.ident	"AMD clang version 19.0.0git (https://github.com/RadeonOpenCompute/llvm-project roc-6.4.0 25133 c7fe45cf4b819c5991fe208aaa96edf142730f1d)"
	.section	".note.GNU-stack","",@progbits
	.addrsig
	.addrsig_sym __hip_cuid_d8d04a2f7c4a8a30
	.amdgpu_metadata
---
amdhsa.kernels:
  - .agpr_count:     0
    .args:
      - .actual_access:  write_only
        .address_space:  global
        .offset:         0
        .size:           8
        .value_kind:     global_buffer
      - .address_space:  global
        .offset:         8
        .size:           8
        .value_kind:     global_buffer
      - .offset:         16
        .size:           4
        .value_kind:     by_value
      - .actual_access:  read_only
        .address_space:  global
        .offset:         24
        .size:           8
        .value_kind:     global_buffer
      - .actual_access:  read_only
        .address_space:  global
        .offset:         32
        .size:           8
        .value_kind:     global_buffer
      - .offset:         40
        .size:           4
        .value_kind:     by_value
      - .offset:         44
        .size:           4
        .value_kind:     by_value
      - .offset:         48
        .size:           4
        .value_kind:     by_value
      - .offset:         56
        .size:           4
        .value_kind:     hidden_block_count_x
      - .offset:         60
        .size:           4
        .value_kind:     hidden_block_count_y
      - .offset:         64
        .size:           4
        .value_kind:     hidden_block_count_z
      - .offset:         68
        .size:           2
        .value_kind:     hidden_group_size_x
      - .offset:         70
        .size:           2
        .value_kind:     hidden_group_size_y
      - .offset:         72
        .size:           2
        .value_kind:     hidden_group_size_z
      - .offset:         74
        .size:           2
        .value_kind:     hidden_remainder_x
      - .offset:         76
        .size:           2
        .value_kind:     hidden_remainder_y
      - .offset:         78
        .size:           2
        .value_kind:     hidden_remainder_z
      - .offset:         96
        .size:           8
        .value_kind:     hidden_global_offset_x
      - .offset:         104
        .size:           8
        .value_kind:     hidden_global_offset_y
      - .offset:         112
        .size:           8
        .value_kind:     hidden_global_offset_z
      - .offset:         120
        .size:           2
        .value_kind:     hidden_grid_dims
    .group_segment_fixed_size: 68
    .kernarg_segment_align: 8
    .kernarg_segment_size: 312
    .language:       OpenCL C
    .language_version:
      - 2
      - 0
    .max_flat_workgroup_size: 1024
    .name:           _ZN4vllm32rms_norm_static_fp8_quant_kernelIfN3c1013Float8_e4m3fnELi16EEEvPT0_PKT_iS7_PKffii
    .private_segment_fixed_size: 0
    .sgpr_count:     34
    .sgpr_spill_count: 0
    .symbol:         _ZN4vllm32rms_norm_static_fp8_quant_kernelIfN3c1013Float8_e4m3fnELi16EEEvPT0_PKT_iS7_PKffii.kd
    .uniform_work_group_size: 1
    .uses_dynamic_stack: false
    .vgpr_count:     46
    .vgpr_spill_count: 0
    .wavefront_size: 64
  - .agpr_count:     0
    .args:
      - .actual_access:  write_only
        .address_space:  global
        .offset:         0
        .size:           8
        .value_kind:     global_buffer
      - .address_space:  global
        .offset:         8
        .size:           8
        .value_kind:     global_buffer
      - .offset:         16
        .size:           4
        .value_kind:     by_value
      - .actual_access:  read_only
        .address_space:  global
        .offset:         24
        .size:           8
        .value_kind:     global_buffer
      - .actual_access:  read_only
        .address_space:  global
        .offset:         32
        .size:           8
        .value_kind:     global_buffer
      - .offset:         40
        .size:           4
        .value_kind:     by_value
      - .offset:         44
        .size:           4
        .value_kind:     by_value
      - .offset:         48
        .size:           4
        .value_kind:     by_value
      - .offset:         56
        .size:           4
        .value_kind:     hidden_block_count_x
      - .offset:         60
        .size:           4
        .value_kind:     hidden_block_count_y
      - .offset:         64
        .size:           4
        .value_kind:     hidden_block_count_z
      - .offset:         68
        .size:           2
        .value_kind:     hidden_group_size_x
      - .offset:         70
        .size:           2
        .value_kind:     hidden_group_size_y
      - .offset:         72
        .size:           2
        .value_kind:     hidden_group_size_z
      - .offset:         74
        .size:           2
        .value_kind:     hidden_remainder_x
      - .offset:         76
        .size:           2
        .value_kind:     hidden_remainder_y
      - .offset:         78
        .size:           2
        .value_kind:     hidden_remainder_z
      - .offset:         96
        .size:           8
        .value_kind:     hidden_global_offset_x
      - .offset:         104
        .size:           8
        .value_kind:     hidden_global_offset_y
      - .offset:         112
        .size:           8
        .value_kind:     hidden_global_offset_z
      - .offset:         120
        .size:           2
        .value_kind:     hidden_grid_dims
    .group_segment_fixed_size: 68
    .kernarg_segment_align: 8
    .kernarg_segment_size: 312
    .language:       OpenCL C
    .language_version:
      - 2
      - 0
    .max_flat_workgroup_size: 1024
    .name:           _ZN4vllm32rms_norm_static_fp8_quant_kernelIfN3c1013Float8_e4m3fnELi8EEEvPT0_PKT_iS7_PKffii
    .private_segment_fixed_size: 0
    .sgpr_count:     34
    .sgpr_spill_count: 0
    .symbol:         _ZN4vllm32rms_norm_static_fp8_quant_kernelIfN3c1013Float8_e4m3fnELi8EEEvPT0_PKT_iS7_PKffii.kd
    .uniform_work_group_size: 1
    .uses_dynamic_stack: false
    .vgpr_count:     30
    .vgpr_spill_count: 0
    .wavefront_size: 64
  - .agpr_count:     0
    .args:
      - .actual_access:  write_only
        .address_space:  global
        .offset:         0
        .size:           8
        .value_kind:     global_buffer
      - .address_space:  global
        .offset:         8
        .size:           8
        .value_kind:     global_buffer
      - .offset:         16
        .size:           4
        .value_kind:     by_value
      - .actual_access:  read_only
        .address_space:  global
        .offset:         24
        .size:           8
        .value_kind:     global_buffer
      - .actual_access:  read_only
        .address_space:  global
        .offset:         32
        .size:           8
        .value_kind:     global_buffer
      - .offset:         40
        .size:           4
        .value_kind:     by_value
      - .offset:         44
        .size:           4
        .value_kind:     by_value
      - .offset:         48
        .size:           4
        .value_kind:     by_value
      - .offset:         56
        .size:           4
        .value_kind:     hidden_block_count_x
      - .offset:         60
        .size:           4
        .value_kind:     hidden_block_count_y
      - .offset:         64
        .size:           4
        .value_kind:     hidden_block_count_z
      - .offset:         68
        .size:           2
        .value_kind:     hidden_group_size_x
      - .offset:         70
        .size:           2
        .value_kind:     hidden_group_size_y
      - .offset:         72
        .size:           2
        .value_kind:     hidden_group_size_z
      - .offset:         74
        .size:           2
        .value_kind:     hidden_remainder_x
      - .offset:         76
        .size:           2
        .value_kind:     hidden_remainder_y
      - .offset:         78
        .size:           2
        .value_kind:     hidden_remainder_z
      - .offset:         96
        .size:           8
        .value_kind:     hidden_global_offset_x
      - .offset:         104
        .size:           8
        .value_kind:     hidden_global_offset_y
      - .offset:         112
        .size:           8
        .value_kind:     hidden_global_offset_z
      - .offset:         120
        .size:           2
        .value_kind:     hidden_grid_dims
    .group_segment_fixed_size: 68
    .kernarg_segment_align: 8
    .kernarg_segment_size: 312
    .language:       OpenCL C
    .language_version:
      - 2
      - 0
    .max_flat_workgroup_size: 1024
    .name:           _ZN4vllm32rms_norm_static_fp8_quant_kernelIfN3c1013Float8_e4m3fnELi4EEEvPT0_PKT_iS7_PKffii
    .private_segment_fixed_size: 0
    .sgpr_count:     32
    .sgpr_spill_count: 0
    .symbol:         _ZN4vllm32rms_norm_static_fp8_quant_kernelIfN3c1013Float8_e4m3fnELi4EEEvPT0_PKT_iS7_PKffii.kd
    .uniform_work_group_size: 1
    .uses_dynamic_stack: false
    .vgpr_count:     25
    .vgpr_spill_count: 0
    .wavefront_size: 64
  - .agpr_count:     0
    .args:
      - .actual_access:  write_only
        .address_space:  global
        .offset:         0
        .size:           8
        .value_kind:     global_buffer
      - .address_space:  global
        .offset:         8
        .size:           8
        .value_kind:     global_buffer
      - .offset:         16
        .size:           4
        .value_kind:     by_value
      - .actual_access:  read_only
        .address_space:  global
        .offset:         24
        .size:           8
        .value_kind:     global_buffer
      - .actual_access:  read_only
        .address_space:  global
        .offset:         32
        .size:           8
        .value_kind:     global_buffer
      - .offset:         40
        .size:           4
        .value_kind:     by_value
      - .offset:         44
        .size:           4
        .value_kind:     by_value
      - .offset:         48
        .size:           4
        .value_kind:     by_value
      - .offset:         56
        .size:           4
        .value_kind:     hidden_block_count_x
      - .offset:         60
        .size:           4
        .value_kind:     hidden_block_count_y
      - .offset:         64
        .size:           4
        .value_kind:     hidden_block_count_z
      - .offset:         68
        .size:           2
        .value_kind:     hidden_group_size_x
      - .offset:         70
        .size:           2
        .value_kind:     hidden_group_size_y
      - .offset:         72
        .size:           2
        .value_kind:     hidden_group_size_z
      - .offset:         74
        .size:           2
        .value_kind:     hidden_remainder_x
      - .offset:         76
        .size:           2
        .value_kind:     hidden_remainder_y
      - .offset:         78
        .size:           2
        .value_kind:     hidden_remainder_z
      - .offset:         96
        .size:           8
        .value_kind:     hidden_global_offset_x
      - .offset:         104
        .size:           8
        .value_kind:     hidden_global_offset_y
      - .offset:         112
        .size:           8
        .value_kind:     hidden_global_offset_z
      - .offset:         120
        .size:           2
        .value_kind:     hidden_grid_dims
    .group_segment_fixed_size: 68
    .kernarg_segment_align: 8
    .kernarg_segment_size: 312
    .language:       OpenCL C
    .language_version:
      - 2
      - 0
    .max_flat_workgroup_size: 1024
    .name:           _ZN4vllm32rms_norm_static_fp8_quant_kernelIfN3c1013Float8_e4m3fnELi2EEEvPT0_PKT_iS7_PKffii
    .private_segment_fixed_size: 0
    .sgpr_count:     32
    .sgpr_spill_count: 0
    .symbol:         _ZN4vllm32rms_norm_static_fp8_quant_kernelIfN3c1013Float8_e4m3fnELi2EEEvPT0_PKT_iS7_PKffii.kd
    .uniform_work_group_size: 1
    .uses_dynamic_stack: false
    .vgpr_count:     21
    .vgpr_spill_count: 0
    .wavefront_size: 64
  - .agpr_count:     0
    .args:
      - .actual_access:  write_only
        .address_space:  global
        .offset:         0
        .size:           8
        .value_kind:     global_buffer
      - .address_space:  global
        .offset:         8
        .size:           8
        .value_kind:     global_buffer
      - .offset:         16
        .size:           4
        .value_kind:     by_value
      - .actual_access:  read_only
        .address_space:  global
        .offset:         24
        .size:           8
        .value_kind:     global_buffer
      - .actual_access:  read_only
        .address_space:  global
        .offset:         32
        .size:           8
        .value_kind:     global_buffer
      - .offset:         40
        .size:           4
        .value_kind:     by_value
      - .offset:         44
        .size:           4
        .value_kind:     by_value
      - .offset:         48
        .size:           4
        .value_kind:     by_value
      - .offset:         56
        .size:           4
        .value_kind:     hidden_block_count_x
      - .offset:         60
        .size:           4
        .value_kind:     hidden_block_count_y
      - .offset:         64
        .size:           4
        .value_kind:     hidden_block_count_z
      - .offset:         68
        .size:           2
        .value_kind:     hidden_group_size_x
      - .offset:         70
        .size:           2
        .value_kind:     hidden_group_size_y
      - .offset:         72
        .size:           2
        .value_kind:     hidden_group_size_z
      - .offset:         74
        .size:           2
        .value_kind:     hidden_remainder_x
      - .offset:         76
        .size:           2
        .value_kind:     hidden_remainder_y
      - .offset:         78
        .size:           2
        .value_kind:     hidden_remainder_z
      - .offset:         96
        .size:           8
        .value_kind:     hidden_global_offset_x
      - .offset:         104
        .size:           8
        .value_kind:     hidden_global_offset_y
      - .offset:         112
        .size:           8
        .value_kind:     hidden_global_offset_z
      - .offset:         120
        .size:           2
        .value_kind:     hidden_grid_dims
    .group_segment_fixed_size: 68
    .kernarg_segment_align: 8
    .kernarg_segment_size: 312
    .language:       OpenCL C
    .language_version:
      - 2
      - 0
    .max_flat_workgroup_size: 1024
    .name:           _ZN4vllm32rms_norm_static_fp8_quant_kernelIfN3c1013Float8_e4m3fnELi1EEEvPT0_PKT_iS7_PKffii
    .private_segment_fixed_size: 0
    .sgpr_count:     30
    .sgpr_spill_count: 0
    .symbol:         _ZN4vllm32rms_norm_static_fp8_quant_kernelIfN3c1013Float8_e4m3fnELi1EEEvPT0_PKT_iS7_PKffii.kd
    .uniform_work_group_size: 1
    .uses_dynamic_stack: false
    .vgpr_count:     16
    .vgpr_spill_count: 0
    .wavefront_size: 64
  - .agpr_count:     0
    .args:
      - .actual_access:  write_only
        .address_space:  global
        .offset:         0
        .size:           8
        .value_kind:     global_buffer
      - .address_space:  global
        .offset:         8
        .size:           8
        .value_kind:     global_buffer
      - .offset:         16
        .size:           4
        .value_kind:     by_value
      - .actual_access:  read_only
        .address_space:  global
        .offset:         24
        .size:           8
        .value_kind:     global_buffer
      - .actual_access:  read_only
        .address_space:  global
        .offset:         32
        .size:           8
        .value_kind:     global_buffer
      - .offset:         40
        .size:           4
        .value_kind:     by_value
      - .offset:         44
        .size:           4
        .value_kind:     by_value
      - .offset:         48
        .size:           4
        .value_kind:     by_value
      - .offset:         56
        .size:           4
        .value_kind:     hidden_block_count_x
      - .offset:         60
        .size:           4
        .value_kind:     hidden_block_count_y
      - .offset:         64
        .size:           4
        .value_kind:     hidden_block_count_z
      - .offset:         68
        .size:           2
        .value_kind:     hidden_group_size_x
      - .offset:         70
        .size:           2
        .value_kind:     hidden_group_size_y
      - .offset:         72
        .size:           2
        .value_kind:     hidden_group_size_z
      - .offset:         74
        .size:           2
        .value_kind:     hidden_remainder_x
      - .offset:         76
        .size:           2
        .value_kind:     hidden_remainder_y
      - .offset:         78
        .size:           2
        .value_kind:     hidden_remainder_z
      - .offset:         96
        .size:           8
        .value_kind:     hidden_global_offset_x
      - .offset:         104
        .size:           8
        .value_kind:     hidden_global_offset_y
      - .offset:         112
        .size:           8
        .value_kind:     hidden_global_offset_z
      - .offset:         120
        .size:           2
        .value_kind:     hidden_grid_dims
    .group_segment_fixed_size: 68
    .kernarg_segment_align: 8
    .kernarg_segment_size: 312
    .language:       OpenCL C
    .language_version:
      - 2
      - 0
    .max_flat_workgroup_size: 1024
    .name:           _ZN4vllm32rms_norm_static_fp8_quant_kernelIfN3c1015Float8_e4m3fnuzELi16EEEvPT0_PKT_iS7_PKffii
    .private_segment_fixed_size: 0
    .sgpr_count:     31
    .sgpr_spill_count: 0
    .symbol:         _ZN4vllm32rms_norm_static_fp8_quant_kernelIfN3c1015Float8_e4m3fnuzELi16EEEvPT0_PKT_iS7_PKffii.kd
    .uniform_work_group_size: 1
    .uses_dynamic_stack: false
    .vgpr_count:     47
    .vgpr_spill_count: 0
    .wavefront_size: 64
  - .agpr_count:     0
    .args:
      - .actual_access:  write_only
        .address_space:  global
        .offset:         0
        .size:           8
        .value_kind:     global_buffer
      - .address_space:  global
        .offset:         8
        .size:           8
        .value_kind:     global_buffer
      - .offset:         16
        .size:           4
        .value_kind:     by_value
      - .actual_access:  read_only
        .address_space:  global
        .offset:         24
        .size:           8
        .value_kind:     global_buffer
      - .actual_access:  read_only
        .address_space:  global
        .offset:         32
        .size:           8
        .value_kind:     global_buffer
      - .offset:         40
        .size:           4
        .value_kind:     by_value
      - .offset:         44
        .size:           4
        .value_kind:     by_value
      - .offset:         48
        .size:           4
        .value_kind:     by_value
      - .offset:         56
        .size:           4
        .value_kind:     hidden_block_count_x
      - .offset:         60
        .size:           4
        .value_kind:     hidden_block_count_y
      - .offset:         64
        .size:           4
        .value_kind:     hidden_block_count_z
      - .offset:         68
        .size:           2
        .value_kind:     hidden_group_size_x
      - .offset:         70
        .size:           2
        .value_kind:     hidden_group_size_y
      - .offset:         72
        .size:           2
        .value_kind:     hidden_group_size_z
      - .offset:         74
        .size:           2
        .value_kind:     hidden_remainder_x
      - .offset:         76
        .size:           2
        .value_kind:     hidden_remainder_y
      - .offset:         78
        .size:           2
        .value_kind:     hidden_remainder_z
      - .offset:         96
        .size:           8
        .value_kind:     hidden_global_offset_x
      - .offset:         104
        .size:           8
        .value_kind:     hidden_global_offset_y
      - .offset:         112
        .size:           8
        .value_kind:     hidden_global_offset_z
      - .offset:         120
        .size:           2
        .value_kind:     hidden_grid_dims
    .group_segment_fixed_size: 68
    .kernarg_segment_align: 8
    .kernarg_segment_size: 312
    .language:       OpenCL C
    .language_version:
      - 2
      - 0
    .max_flat_workgroup_size: 1024
    .name:           _ZN4vllm32rms_norm_static_fp8_quant_kernelIfN3c1015Float8_e4m3fnuzELi8EEEvPT0_PKT_iS7_PKffii
    .private_segment_fixed_size: 0
    .sgpr_count:     31
    .sgpr_spill_count: 0
    .symbol:         _ZN4vllm32rms_norm_static_fp8_quant_kernelIfN3c1015Float8_e4m3fnuzELi8EEEvPT0_PKT_iS7_PKffii.kd
    .uniform_work_group_size: 1
    .uses_dynamic_stack: false
    .vgpr_count:     31
    .vgpr_spill_count: 0
    .wavefront_size: 64
  - .agpr_count:     0
    .args:
      - .actual_access:  write_only
        .address_space:  global
        .offset:         0
        .size:           8
        .value_kind:     global_buffer
      - .address_space:  global
        .offset:         8
        .size:           8
        .value_kind:     global_buffer
      - .offset:         16
        .size:           4
        .value_kind:     by_value
      - .actual_access:  read_only
        .address_space:  global
        .offset:         24
        .size:           8
        .value_kind:     global_buffer
      - .actual_access:  read_only
        .address_space:  global
        .offset:         32
        .size:           8
        .value_kind:     global_buffer
      - .offset:         40
        .size:           4
        .value_kind:     by_value
      - .offset:         44
        .size:           4
        .value_kind:     by_value
      - .offset:         48
        .size:           4
        .value_kind:     by_value
      - .offset:         56
        .size:           4
        .value_kind:     hidden_block_count_x
      - .offset:         60
        .size:           4
        .value_kind:     hidden_block_count_y
      - .offset:         64
        .size:           4
        .value_kind:     hidden_block_count_z
      - .offset:         68
        .size:           2
        .value_kind:     hidden_group_size_x
      - .offset:         70
        .size:           2
        .value_kind:     hidden_group_size_y
      - .offset:         72
        .size:           2
        .value_kind:     hidden_group_size_z
      - .offset:         74
        .size:           2
        .value_kind:     hidden_remainder_x
      - .offset:         76
        .size:           2
        .value_kind:     hidden_remainder_y
      - .offset:         78
        .size:           2
        .value_kind:     hidden_remainder_z
      - .offset:         96
        .size:           8
        .value_kind:     hidden_global_offset_x
      - .offset:         104
        .size:           8
        .value_kind:     hidden_global_offset_y
      - .offset:         112
        .size:           8
        .value_kind:     hidden_global_offset_z
      - .offset:         120
        .size:           2
        .value_kind:     hidden_grid_dims
    .group_segment_fixed_size: 68
    .kernarg_segment_align: 8
    .kernarg_segment_size: 312
    .language:       OpenCL C
    .language_version:
      - 2
      - 0
    .max_flat_workgroup_size: 1024
    .name:           _ZN4vllm32rms_norm_static_fp8_quant_kernelIfN3c1015Float8_e4m3fnuzELi4EEEvPT0_PKT_iS7_PKffii
    .private_segment_fixed_size: 0
    .sgpr_count:     30
    .sgpr_spill_count: 0
    .symbol:         _ZN4vllm32rms_norm_static_fp8_quant_kernelIfN3c1015Float8_e4m3fnuzELi4EEEvPT0_PKT_iS7_PKffii.kd
    .uniform_work_group_size: 1
    .uses_dynamic_stack: false
    .vgpr_count:     26
    .vgpr_spill_count: 0
    .wavefront_size: 64
  - .agpr_count:     0
    .args:
      - .actual_access:  write_only
        .address_space:  global
        .offset:         0
        .size:           8
        .value_kind:     global_buffer
      - .address_space:  global
        .offset:         8
        .size:           8
        .value_kind:     global_buffer
      - .offset:         16
        .size:           4
        .value_kind:     by_value
      - .actual_access:  read_only
        .address_space:  global
        .offset:         24
        .size:           8
        .value_kind:     global_buffer
      - .actual_access:  read_only
        .address_space:  global
        .offset:         32
        .size:           8
        .value_kind:     global_buffer
      - .offset:         40
        .size:           4
        .value_kind:     by_value
      - .offset:         44
        .size:           4
        .value_kind:     by_value
      - .offset:         48
        .size:           4
        .value_kind:     by_value
      - .offset:         56
        .size:           4
        .value_kind:     hidden_block_count_x
      - .offset:         60
        .size:           4
        .value_kind:     hidden_block_count_y
      - .offset:         64
        .size:           4
        .value_kind:     hidden_block_count_z
      - .offset:         68
        .size:           2
        .value_kind:     hidden_group_size_x
      - .offset:         70
        .size:           2
        .value_kind:     hidden_group_size_y
      - .offset:         72
        .size:           2
        .value_kind:     hidden_group_size_z
      - .offset:         74
        .size:           2
        .value_kind:     hidden_remainder_x
      - .offset:         76
        .size:           2
        .value_kind:     hidden_remainder_y
      - .offset:         78
        .size:           2
        .value_kind:     hidden_remainder_z
      - .offset:         96
        .size:           8
        .value_kind:     hidden_global_offset_x
      - .offset:         104
        .size:           8
        .value_kind:     hidden_global_offset_y
      - .offset:         112
        .size:           8
        .value_kind:     hidden_global_offset_z
      - .offset:         120
        .size:           2
        .value_kind:     hidden_grid_dims
    .group_segment_fixed_size: 68
    .kernarg_segment_align: 8
    .kernarg_segment_size: 312
    .language:       OpenCL C
    .language_version:
      - 2
      - 0
    .max_flat_workgroup_size: 1024
    .name:           _ZN4vllm32rms_norm_static_fp8_quant_kernelIfN3c1015Float8_e4m3fnuzELi2EEEvPT0_PKT_iS7_PKffii
    .private_segment_fixed_size: 0
    .sgpr_count:     30
    .sgpr_spill_count: 0
    .symbol:         _ZN4vllm32rms_norm_static_fp8_quant_kernelIfN3c1015Float8_e4m3fnuzELi2EEEvPT0_PKT_iS7_PKffii.kd
    .uniform_work_group_size: 1
    .uses_dynamic_stack: false
    .vgpr_count:     21
    .vgpr_spill_count: 0
    .wavefront_size: 64
  - .agpr_count:     0
    .args:
      - .actual_access:  write_only
        .address_space:  global
        .offset:         0
        .size:           8
        .value_kind:     global_buffer
      - .address_space:  global
        .offset:         8
        .size:           8
        .value_kind:     global_buffer
      - .offset:         16
        .size:           4
        .value_kind:     by_value
      - .actual_access:  read_only
        .address_space:  global
        .offset:         24
        .size:           8
        .value_kind:     global_buffer
      - .actual_access:  read_only
        .address_space:  global
        .offset:         32
        .size:           8
        .value_kind:     global_buffer
      - .offset:         40
        .size:           4
        .value_kind:     by_value
      - .offset:         44
        .size:           4
        .value_kind:     by_value
      - .offset:         48
        .size:           4
        .value_kind:     by_value
      - .offset:         56
        .size:           4
        .value_kind:     hidden_block_count_x
      - .offset:         60
        .size:           4
        .value_kind:     hidden_block_count_y
      - .offset:         64
        .size:           4
        .value_kind:     hidden_block_count_z
      - .offset:         68
        .size:           2
        .value_kind:     hidden_group_size_x
      - .offset:         70
        .size:           2
        .value_kind:     hidden_group_size_y
      - .offset:         72
        .size:           2
        .value_kind:     hidden_group_size_z
      - .offset:         74
        .size:           2
        .value_kind:     hidden_remainder_x
      - .offset:         76
        .size:           2
        .value_kind:     hidden_remainder_y
      - .offset:         78
        .size:           2
        .value_kind:     hidden_remainder_z
      - .offset:         96
        .size:           8
        .value_kind:     hidden_global_offset_x
      - .offset:         104
        .size:           8
        .value_kind:     hidden_global_offset_y
      - .offset:         112
        .size:           8
        .value_kind:     hidden_global_offset_z
      - .offset:         120
        .size:           2
        .value_kind:     hidden_grid_dims
    .group_segment_fixed_size: 68
    .kernarg_segment_align: 8
    .kernarg_segment_size: 312
    .language:       OpenCL C
    .language_version:
      - 2
      - 0
    .max_flat_workgroup_size: 1024
    .name:           _ZN4vllm32rms_norm_static_fp8_quant_kernelIfN3c1015Float8_e4m3fnuzELi1EEEvPT0_PKT_iS7_PKffii
    .private_segment_fixed_size: 0
    .sgpr_count:     28
    .sgpr_spill_count: 0
    .symbol:         _ZN4vllm32rms_norm_static_fp8_quant_kernelIfN3c1015Float8_e4m3fnuzELi1EEEvPT0_PKT_iS7_PKffii.kd
    .uniform_work_group_size: 1
    .uses_dynamic_stack: false
    .vgpr_count:     16
    .vgpr_spill_count: 0
    .wavefront_size: 64
  - .agpr_count:     0
    .args:
      - .actual_access:  write_only
        .address_space:  global
        .offset:         0
        .size:           8
        .value_kind:     global_buffer
      - .address_space:  global
        .offset:         8
        .size:           8
        .value_kind:     global_buffer
      - .offset:         16
        .size:           4
        .value_kind:     by_value
      - .actual_access:  read_only
        .address_space:  global
        .offset:         24
        .size:           8
        .value_kind:     global_buffer
      - .actual_access:  read_only
        .address_space:  global
        .offset:         32
        .size:           8
        .value_kind:     global_buffer
      - .offset:         40
        .size:           4
        .value_kind:     by_value
      - .offset:         44
        .size:           4
        .value_kind:     by_value
      - .offset:         48
        .size:           4
        .value_kind:     by_value
      - .offset:         56
        .size:           4
        .value_kind:     hidden_block_count_x
      - .offset:         60
        .size:           4
        .value_kind:     hidden_block_count_y
      - .offset:         64
        .size:           4
        .value_kind:     hidden_block_count_z
      - .offset:         68
        .size:           2
        .value_kind:     hidden_group_size_x
      - .offset:         70
        .size:           2
        .value_kind:     hidden_group_size_y
      - .offset:         72
        .size:           2
        .value_kind:     hidden_group_size_z
      - .offset:         74
        .size:           2
        .value_kind:     hidden_remainder_x
      - .offset:         76
        .size:           2
        .value_kind:     hidden_remainder_y
      - .offset:         78
        .size:           2
        .value_kind:     hidden_remainder_z
      - .offset:         96
        .size:           8
        .value_kind:     hidden_global_offset_x
      - .offset:         104
        .size:           8
        .value_kind:     hidden_global_offset_y
      - .offset:         112
        .size:           8
        .value_kind:     hidden_global_offset_z
      - .offset:         120
        .size:           2
        .value_kind:     hidden_grid_dims
    .group_segment_fixed_size: 68
    .kernarg_segment_align: 8
    .kernarg_segment_size: 312
    .language:       OpenCL C
    .language_version:
      - 2
      - 0
    .max_flat_workgroup_size: 1024
    .name:           _ZN4vllm32rms_norm_static_fp8_quant_kernelIN3c104HalfENS1_13Float8_e4m3fnELi16EEEvPT0_PKT_iS8_PKffii
    .private_segment_fixed_size: 0
    .sgpr_count:     34
    .sgpr_spill_count: 0
    .symbol:         _ZN4vllm32rms_norm_static_fp8_quant_kernelIN3c104HalfENS1_13Float8_e4m3fnELi16EEEvPT0_PKT_iS8_PKffii.kd
    .uniform_work_group_size: 1
    .uses_dynamic_stack: false
    .vgpr_count:     32
    .vgpr_spill_count: 0
    .wavefront_size: 64
  - .agpr_count:     0
    .args:
      - .actual_access:  write_only
        .address_space:  global
        .offset:         0
        .size:           8
        .value_kind:     global_buffer
      - .address_space:  global
        .offset:         8
        .size:           8
        .value_kind:     global_buffer
      - .offset:         16
        .size:           4
        .value_kind:     by_value
      - .actual_access:  read_only
        .address_space:  global
        .offset:         24
        .size:           8
        .value_kind:     global_buffer
      - .actual_access:  read_only
        .address_space:  global
        .offset:         32
        .size:           8
        .value_kind:     global_buffer
      - .offset:         40
        .size:           4
        .value_kind:     by_value
      - .offset:         44
        .size:           4
        .value_kind:     by_value
      - .offset:         48
        .size:           4
        .value_kind:     by_value
      - .offset:         56
        .size:           4
        .value_kind:     hidden_block_count_x
      - .offset:         60
        .size:           4
        .value_kind:     hidden_block_count_y
      - .offset:         64
        .size:           4
        .value_kind:     hidden_block_count_z
      - .offset:         68
        .size:           2
        .value_kind:     hidden_group_size_x
      - .offset:         70
        .size:           2
        .value_kind:     hidden_group_size_y
      - .offset:         72
        .size:           2
        .value_kind:     hidden_group_size_z
      - .offset:         74
        .size:           2
        .value_kind:     hidden_remainder_x
      - .offset:         76
        .size:           2
        .value_kind:     hidden_remainder_y
      - .offset:         78
        .size:           2
        .value_kind:     hidden_remainder_z
      - .offset:         96
        .size:           8
        .value_kind:     hidden_global_offset_x
      - .offset:         104
        .size:           8
        .value_kind:     hidden_global_offset_y
      - .offset:         112
        .size:           8
        .value_kind:     hidden_global_offset_z
      - .offset:         120
        .size:           2
        .value_kind:     hidden_grid_dims
    .group_segment_fixed_size: 68
    .kernarg_segment_align: 8
    .kernarg_segment_size: 312
    .language:       OpenCL C
    .language_version:
      - 2
      - 0
    .max_flat_workgroup_size: 1024
    .name:           _ZN4vllm32rms_norm_static_fp8_quant_kernelIN3c104HalfENS1_13Float8_e4m3fnELi8EEEvPT0_PKT_iS8_PKffii
    .private_segment_fixed_size: 0
    .sgpr_count:     34
    .sgpr_spill_count: 0
    .symbol:         _ZN4vllm32rms_norm_static_fp8_quant_kernelIN3c104HalfENS1_13Float8_e4m3fnELi8EEEvPT0_PKT_iS8_PKffii.kd
    .uniform_work_group_size: 1
    .uses_dynamic_stack: false
    .vgpr_count:     24
    .vgpr_spill_count: 0
    .wavefront_size: 64
  - .agpr_count:     0
    .args:
      - .actual_access:  write_only
        .address_space:  global
        .offset:         0
        .size:           8
        .value_kind:     global_buffer
      - .address_space:  global
        .offset:         8
        .size:           8
        .value_kind:     global_buffer
      - .offset:         16
        .size:           4
        .value_kind:     by_value
      - .actual_access:  read_only
        .address_space:  global
        .offset:         24
        .size:           8
        .value_kind:     global_buffer
      - .actual_access:  read_only
        .address_space:  global
        .offset:         32
        .size:           8
        .value_kind:     global_buffer
      - .offset:         40
        .size:           4
        .value_kind:     by_value
      - .offset:         44
        .size:           4
        .value_kind:     by_value
      - .offset:         48
        .size:           4
        .value_kind:     by_value
      - .offset:         56
        .size:           4
        .value_kind:     hidden_block_count_x
      - .offset:         60
        .size:           4
        .value_kind:     hidden_block_count_y
      - .offset:         64
        .size:           4
        .value_kind:     hidden_block_count_z
      - .offset:         68
        .size:           2
        .value_kind:     hidden_group_size_x
      - .offset:         70
        .size:           2
        .value_kind:     hidden_group_size_y
      - .offset:         72
        .size:           2
        .value_kind:     hidden_group_size_z
      - .offset:         74
        .size:           2
        .value_kind:     hidden_remainder_x
      - .offset:         76
        .size:           2
        .value_kind:     hidden_remainder_y
      - .offset:         78
        .size:           2
        .value_kind:     hidden_remainder_z
      - .offset:         96
        .size:           8
        .value_kind:     hidden_global_offset_x
      - .offset:         104
        .size:           8
        .value_kind:     hidden_global_offset_y
      - .offset:         112
        .size:           8
        .value_kind:     hidden_global_offset_z
      - .offset:         120
        .size:           2
        .value_kind:     hidden_grid_dims
    .group_segment_fixed_size: 68
    .kernarg_segment_align: 8
    .kernarg_segment_size: 312
    .language:       OpenCL C
    .language_version:
      - 2
      - 0
    .max_flat_workgroup_size: 1024
    .name:           _ZN4vllm32rms_norm_static_fp8_quant_kernelIN3c104HalfENS1_13Float8_e4m3fnELi4EEEvPT0_PKT_iS8_PKffii
    .private_segment_fixed_size: 0
    .sgpr_count:     34
    .sgpr_spill_count: 0
    .symbol:         _ZN4vllm32rms_norm_static_fp8_quant_kernelIN3c104HalfENS1_13Float8_e4m3fnELi4EEEvPT0_PKT_iS8_PKffii.kd
    .uniform_work_group_size: 1
    .uses_dynamic_stack: false
    .vgpr_count:     20
    .vgpr_spill_count: 0
    .wavefront_size: 64
  - .agpr_count:     0
    .args:
      - .actual_access:  write_only
        .address_space:  global
        .offset:         0
        .size:           8
        .value_kind:     global_buffer
      - .address_space:  global
        .offset:         8
        .size:           8
        .value_kind:     global_buffer
      - .offset:         16
        .size:           4
        .value_kind:     by_value
      - .actual_access:  read_only
        .address_space:  global
        .offset:         24
        .size:           8
        .value_kind:     global_buffer
      - .actual_access:  read_only
        .address_space:  global
        .offset:         32
        .size:           8
        .value_kind:     global_buffer
      - .offset:         40
        .size:           4
        .value_kind:     by_value
      - .offset:         44
        .size:           4
        .value_kind:     by_value
      - .offset:         48
        .size:           4
        .value_kind:     by_value
      - .offset:         56
        .size:           4
        .value_kind:     hidden_block_count_x
      - .offset:         60
        .size:           4
        .value_kind:     hidden_block_count_y
      - .offset:         64
        .size:           4
        .value_kind:     hidden_block_count_z
      - .offset:         68
        .size:           2
        .value_kind:     hidden_group_size_x
      - .offset:         70
        .size:           2
        .value_kind:     hidden_group_size_y
      - .offset:         72
        .size:           2
        .value_kind:     hidden_group_size_z
      - .offset:         74
        .size:           2
        .value_kind:     hidden_remainder_x
      - .offset:         76
        .size:           2
        .value_kind:     hidden_remainder_y
      - .offset:         78
        .size:           2
        .value_kind:     hidden_remainder_z
      - .offset:         96
        .size:           8
        .value_kind:     hidden_global_offset_x
      - .offset:         104
        .size:           8
        .value_kind:     hidden_global_offset_y
      - .offset:         112
        .size:           8
        .value_kind:     hidden_global_offset_z
      - .offset:         120
        .size:           2
        .value_kind:     hidden_grid_dims
    .group_segment_fixed_size: 68
    .kernarg_segment_align: 8
    .kernarg_segment_size: 312
    .language:       OpenCL C
    .language_version:
      - 2
      - 0
    .max_flat_workgroup_size: 1024
    .name:           _ZN4vllm32rms_norm_static_fp8_quant_kernelIN3c104HalfENS1_13Float8_e4m3fnELi2EEEvPT0_PKT_iS8_PKffii
    .private_segment_fixed_size: 0
    .sgpr_count:     32
    .sgpr_spill_count: 0
    .symbol:         _ZN4vllm32rms_norm_static_fp8_quant_kernelIN3c104HalfENS1_13Float8_e4m3fnELi2EEEvPT0_PKT_iS8_PKffii.kd
    .uniform_work_group_size: 1
    .uses_dynamic_stack: false
    .vgpr_count:     22
    .vgpr_spill_count: 0
    .wavefront_size: 64
  - .agpr_count:     0
    .args:
      - .actual_access:  write_only
        .address_space:  global
        .offset:         0
        .size:           8
        .value_kind:     global_buffer
      - .address_space:  global
        .offset:         8
        .size:           8
        .value_kind:     global_buffer
      - .offset:         16
        .size:           4
        .value_kind:     by_value
      - .actual_access:  read_only
        .address_space:  global
        .offset:         24
        .size:           8
        .value_kind:     global_buffer
      - .actual_access:  read_only
        .address_space:  global
        .offset:         32
        .size:           8
        .value_kind:     global_buffer
      - .offset:         40
        .size:           4
        .value_kind:     by_value
      - .offset:         44
        .size:           4
        .value_kind:     by_value
      - .offset:         48
        .size:           4
        .value_kind:     by_value
      - .offset:         56
        .size:           4
        .value_kind:     hidden_block_count_x
      - .offset:         60
        .size:           4
        .value_kind:     hidden_block_count_y
      - .offset:         64
        .size:           4
        .value_kind:     hidden_block_count_z
      - .offset:         68
        .size:           2
        .value_kind:     hidden_group_size_x
      - .offset:         70
        .size:           2
        .value_kind:     hidden_group_size_y
      - .offset:         72
        .size:           2
        .value_kind:     hidden_group_size_z
      - .offset:         74
        .size:           2
        .value_kind:     hidden_remainder_x
      - .offset:         76
        .size:           2
        .value_kind:     hidden_remainder_y
      - .offset:         78
        .size:           2
        .value_kind:     hidden_remainder_z
      - .offset:         96
        .size:           8
        .value_kind:     hidden_global_offset_x
      - .offset:         104
        .size:           8
        .value_kind:     hidden_global_offset_y
      - .offset:         112
        .size:           8
        .value_kind:     hidden_global_offset_z
      - .offset:         120
        .size:           2
        .value_kind:     hidden_grid_dims
    .group_segment_fixed_size: 68
    .kernarg_segment_align: 8
    .kernarg_segment_size: 312
    .language:       OpenCL C
    .language_version:
      - 2
      - 0
    .max_flat_workgroup_size: 1024
    .name:           _ZN4vllm32rms_norm_static_fp8_quant_kernelIN3c104HalfENS1_13Float8_e4m3fnELi1EEEvPT0_PKT_iS8_PKffii
    .private_segment_fixed_size: 0
    .sgpr_count:     30
    .sgpr_spill_count: 0
    .symbol:         _ZN4vllm32rms_norm_static_fp8_quant_kernelIN3c104HalfENS1_13Float8_e4m3fnELi1EEEvPT0_PKT_iS8_PKffii.kd
    .uniform_work_group_size: 1
    .uses_dynamic_stack: false
    .vgpr_count:     16
    .vgpr_spill_count: 0
    .wavefront_size: 64
  - .agpr_count:     0
    .args:
      - .actual_access:  write_only
        .address_space:  global
        .offset:         0
        .size:           8
        .value_kind:     global_buffer
      - .address_space:  global
        .offset:         8
        .size:           8
        .value_kind:     global_buffer
      - .offset:         16
        .size:           4
        .value_kind:     by_value
      - .actual_access:  read_only
        .address_space:  global
        .offset:         24
        .size:           8
        .value_kind:     global_buffer
      - .actual_access:  read_only
        .address_space:  global
        .offset:         32
        .size:           8
        .value_kind:     global_buffer
      - .offset:         40
        .size:           4
        .value_kind:     by_value
      - .offset:         44
        .size:           4
        .value_kind:     by_value
      - .offset:         48
        .size:           4
        .value_kind:     by_value
      - .offset:         56
        .size:           4
        .value_kind:     hidden_block_count_x
      - .offset:         60
        .size:           4
        .value_kind:     hidden_block_count_y
      - .offset:         64
        .size:           4
        .value_kind:     hidden_block_count_z
      - .offset:         68
        .size:           2
        .value_kind:     hidden_group_size_x
      - .offset:         70
        .size:           2
        .value_kind:     hidden_group_size_y
      - .offset:         72
        .size:           2
        .value_kind:     hidden_group_size_z
      - .offset:         74
        .size:           2
        .value_kind:     hidden_remainder_x
      - .offset:         76
        .size:           2
        .value_kind:     hidden_remainder_y
      - .offset:         78
        .size:           2
        .value_kind:     hidden_remainder_z
      - .offset:         96
        .size:           8
        .value_kind:     hidden_global_offset_x
      - .offset:         104
        .size:           8
        .value_kind:     hidden_global_offset_y
      - .offset:         112
        .size:           8
        .value_kind:     hidden_global_offset_z
      - .offset:         120
        .size:           2
        .value_kind:     hidden_grid_dims
    .group_segment_fixed_size: 68
    .kernarg_segment_align: 8
    .kernarg_segment_size: 312
    .language:       OpenCL C
    .language_version:
      - 2
      - 0
    .max_flat_workgroup_size: 1024
    .name:           _ZN4vllm32rms_norm_static_fp8_quant_kernelIN3c104HalfENS1_15Float8_e4m3fnuzELi16EEEvPT0_PKT_iS8_PKffii
    .private_segment_fixed_size: 0
    .sgpr_count:     31
    .sgpr_spill_count: 0
    .symbol:         _ZN4vllm32rms_norm_static_fp8_quant_kernelIN3c104HalfENS1_15Float8_e4m3fnuzELi16EEEvPT0_PKT_iS8_PKffii.kd
    .uniform_work_group_size: 1
    .uses_dynamic_stack: false
    .vgpr_count:     32
    .vgpr_spill_count: 0
    .wavefront_size: 64
  - .agpr_count:     0
    .args:
      - .actual_access:  write_only
        .address_space:  global
        .offset:         0
        .size:           8
        .value_kind:     global_buffer
      - .address_space:  global
        .offset:         8
        .size:           8
        .value_kind:     global_buffer
      - .offset:         16
        .size:           4
        .value_kind:     by_value
      - .actual_access:  read_only
        .address_space:  global
        .offset:         24
        .size:           8
        .value_kind:     global_buffer
      - .actual_access:  read_only
        .address_space:  global
        .offset:         32
        .size:           8
        .value_kind:     global_buffer
      - .offset:         40
        .size:           4
        .value_kind:     by_value
      - .offset:         44
        .size:           4
        .value_kind:     by_value
      - .offset:         48
        .size:           4
        .value_kind:     by_value
      - .offset:         56
        .size:           4
        .value_kind:     hidden_block_count_x
      - .offset:         60
        .size:           4
        .value_kind:     hidden_block_count_y
      - .offset:         64
        .size:           4
        .value_kind:     hidden_block_count_z
      - .offset:         68
        .size:           2
        .value_kind:     hidden_group_size_x
      - .offset:         70
        .size:           2
        .value_kind:     hidden_group_size_y
      - .offset:         72
        .size:           2
        .value_kind:     hidden_group_size_z
      - .offset:         74
        .size:           2
        .value_kind:     hidden_remainder_x
      - .offset:         76
        .size:           2
        .value_kind:     hidden_remainder_y
      - .offset:         78
        .size:           2
        .value_kind:     hidden_remainder_z
      - .offset:         96
        .size:           8
        .value_kind:     hidden_global_offset_x
      - .offset:         104
        .size:           8
        .value_kind:     hidden_global_offset_y
      - .offset:         112
        .size:           8
        .value_kind:     hidden_global_offset_z
      - .offset:         120
        .size:           2
        .value_kind:     hidden_grid_dims
    .group_segment_fixed_size: 68
    .kernarg_segment_align: 8
    .kernarg_segment_size: 312
    .language:       OpenCL C
    .language_version:
      - 2
      - 0
    .max_flat_workgroup_size: 1024
    .name:           _ZN4vllm32rms_norm_static_fp8_quant_kernelIN3c104HalfENS1_15Float8_e4m3fnuzELi8EEEvPT0_PKT_iS8_PKffii
    .private_segment_fixed_size: 0
    .sgpr_count:     31
    .sgpr_spill_count: 0
    .symbol:         _ZN4vllm32rms_norm_static_fp8_quant_kernelIN3c104HalfENS1_15Float8_e4m3fnuzELi8EEEvPT0_PKT_iS8_PKffii.kd
    .uniform_work_group_size: 1
    .uses_dynamic_stack: false
    .vgpr_count:     24
    .vgpr_spill_count: 0
    .wavefront_size: 64
  - .agpr_count:     0
    .args:
      - .actual_access:  write_only
        .address_space:  global
        .offset:         0
        .size:           8
        .value_kind:     global_buffer
      - .address_space:  global
        .offset:         8
        .size:           8
        .value_kind:     global_buffer
      - .offset:         16
        .size:           4
        .value_kind:     by_value
      - .actual_access:  read_only
        .address_space:  global
        .offset:         24
        .size:           8
        .value_kind:     global_buffer
      - .actual_access:  read_only
        .address_space:  global
        .offset:         32
        .size:           8
        .value_kind:     global_buffer
      - .offset:         40
        .size:           4
        .value_kind:     by_value
      - .offset:         44
        .size:           4
        .value_kind:     by_value
      - .offset:         48
        .size:           4
        .value_kind:     by_value
      - .offset:         56
        .size:           4
        .value_kind:     hidden_block_count_x
      - .offset:         60
        .size:           4
        .value_kind:     hidden_block_count_y
      - .offset:         64
        .size:           4
        .value_kind:     hidden_block_count_z
      - .offset:         68
        .size:           2
        .value_kind:     hidden_group_size_x
      - .offset:         70
        .size:           2
        .value_kind:     hidden_group_size_y
      - .offset:         72
        .size:           2
        .value_kind:     hidden_group_size_z
      - .offset:         74
        .size:           2
        .value_kind:     hidden_remainder_x
      - .offset:         76
        .size:           2
        .value_kind:     hidden_remainder_y
      - .offset:         78
        .size:           2
        .value_kind:     hidden_remainder_z
      - .offset:         96
        .size:           8
        .value_kind:     hidden_global_offset_x
      - .offset:         104
        .size:           8
        .value_kind:     hidden_global_offset_y
      - .offset:         112
        .size:           8
        .value_kind:     hidden_global_offset_z
      - .offset:         120
        .size:           2
        .value_kind:     hidden_grid_dims
    .group_segment_fixed_size: 68
    .kernarg_segment_align: 8
    .kernarg_segment_size: 312
    .language:       OpenCL C
    .language_version:
      - 2
      - 0
    .max_flat_workgroup_size: 1024
    .name:           _ZN4vllm32rms_norm_static_fp8_quant_kernelIN3c104HalfENS1_15Float8_e4m3fnuzELi4EEEvPT0_PKT_iS8_PKffii
    .private_segment_fixed_size: 0
    .sgpr_count:     31
    .sgpr_spill_count: 0
    .symbol:         _ZN4vllm32rms_norm_static_fp8_quant_kernelIN3c104HalfENS1_15Float8_e4m3fnuzELi4EEEvPT0_PKT_iS8_PKffii.kd
    .uniform_work_group_size: 1
    .uses_dynamic_stack: false
    .vgpr_count:     20
    .vgpr_spill_count: 0
    .wavefront_size: 64
  - .agpr_count:     0
    .args:
      - .actual_access:  write_only
        .address_space:  global
        .offset:         0
        .size:           8
        .value_kind:     global_buffer
      - .address_space:  global
        .offset:         8
        .size:           8
        .value_kind:     global_buffer
      - .offset:         16
        .size:           4
        .value_kind:     by_value
      - .actual_access:  read_only
        .address_space:  global
        .offset:         24
        .size:           8
        .value_kind:     global_buffer
      - .actual_access:  read_only
        .address_space:  global
        .offset:         32
        .size:           8
        .value_kind:     global_buffer
      - .offset:         40
        .size:           4
        .value_kind:     by_value
      - .offset:         44
        .size:           4
        .value_kind:     by_value
      - .offset:         48
        .size:           4
        .value_kind:     by_value
      - .offset:         56
        .size:           4
        .value_kind:     hidden_block_count_x
      - .offset:         60
        .size:           4
        .value_kind:     hidden_block_count_y
      - .offset:         64
        .size:           4
        .value_kind:     hidden_block_count_z
      - .offset:         68
        .size:           2
        .value_kind:     hidden_group_size_x
      - .offset:         70
        .size:           2
        .value_kind:     hidden_group_size_y
      - .offset:         72
        .size:           2
        .value_kind:     hidden_group_size_z
      - .offset:         74
        .size:           2
        .value_kind:     hidden_remainder_x
      - .offset:         76
        .size:           2
        .value_kind:     hidden_remainder_y
      - .offset:         78
        .size:           2
        .value_kind:     hidden_remainder_z
      - .offset:         96
        .size:           8
        .value_kind:     hidden_global_offset_x
      - .offset:         104
        .size:           8
        .value_kind:     hidden_global_offset_y
      - .offset:         112
        .size:           8
        .value_kind:     hidden_global_offset_z
      - .offset:         120
        .size:           2
        .value_kind:     hidden_grid_dims
    .group_segment_fixed_size: 68
    .kernarg_segment_align: 8
    .kernarg_segment_size: 312
    .language:       OpenCL C
    .language_version:
      - 2
      - 0
    .max_flat_workgroup_size: 1024
    .name:           _ZN4vllm32rms_norm_static_fp8_quant_kernelIN3c104HalfENS1_15Float8_e4m3fnuzELi2EEEvPT0_PKT_iS8_PKffii
    .private_segment_fixed_size: 0
    .sgpr_count:     30
    .sgpr_spill_count: 0
    .symbol:         _ZN4vllm32rms_norm_static_fp8_quant_kernelIN3c104HalfENS1_15Float8_e4m3fnuzELi2EEEvPT0_PKT_iS8_PKffii.kd
    .uniform_work_group_size: 1
    .uses_dynamic_stack: false
    .vgpr_count:     22
    .vgpr_spill_count: 0
    .wavefront_size: 64
  - .agpr_count:     0
    .args:
      - .actual_access:  write_only
        .address_space:  global
        .offset:         0
        .size:           8
        .value_kind:     global_buffer
      - .address_space:  global
        .offset:         8
        .size:           8
        .value_kind:     global_buffer
      - .offset:         16
        .size:           4
        .value_kind:     by_value
      - .actual_access:  read_only
        .address_space:  global
        .offset:         24
        .size:           8
        .value_kind:     global_buffer
      - .actual_access:  read_only
        .address_space:  global
        .offset:         32
        .size:           8
        .value_kind:     global_buffer
      - .offset:         40
        .size:           4
        .value_kind:     by_value
      - .offset:         44
        .size:           4
        .value_kind:     by_value
      - .offset:         48
        .size:           4
        .value_kind:     by_value
      - .offset:         56
        .size:           4
        .value_kind:     hidden_block_count_x
      - .offset:         60
        .size:           4
        .value_kind:     hidden_block_count_y
      - .offset:         64
        .size:           4
        .value_kind:     hidden_block_count_z
      - .offset:         68
        .size:           2
        .value_kind:     hidden_group_size_x
      - .offset:         70
        .size:           2
        .value_kind:     hidden_group_size_y
      - .offset:         72
        .size:           2
        .value_kind:     hidden_group_size_z
      - .offset:         74
        .size:           2
        .value_kind:     hidden_remainder_x
      - .offset:         76
        .size:           2
        .value_kind:     hidden_remainder_y
      - .offset:         78
        .size:           2
        .value_kind:     hidden_remainder_z
      - .offset:         96
        .size:           8
        .value_kind:     hidden_global_offset_x
      - .offset:         104
        .size:           8
        .value_kind:     hidden_global_offset_y
      - .offset:         112
        .size:           8
        .value_kind:     hidden_global_offset_z
      - .offset:         120
        .size:           2
        .value_kind:     hidden_grid_dims
    .group_segment_fixed_size: 68
    .kernarg_segment_align: 8
    .kernarg_segment_size: 312
    .language:       OpenCL C
    .language_version:
      - 2
      - 0
    .max_flat_workgroup_size: 1024
    .name:           _ZN4vllm32rms_norm_static_fp8_quant_kernelIN3c104HalfENS1_15Float8_e4m3fnuzELi1EEEvPT0_PKT_iS8_PKffii
    .private_segment_fixed_size: 0
    .sgpr_count:     28
    .sgpr_spill_count: 0
    .symbol:         _ZN4vllm32rms_norm_static_fp8_quant_kernelIN3c104HalfENS1_15Float8_e4m3fnuzELi1EEEvPT0_PKT_iS8_PKffii.kd
    .uniform_work_group_size: 1
    .uses_dynamic_stack: false
    .vgpr_count:     16
    .vgpr_spill_count: 0
    .wavefront_size: 64
  - .agpr_count:     0
    .args:
      - .actual_access:  write_only
        .address_space:  global
        .offset:         0
        .size:           8
        .value_kind:     global_buffer
      - .address_space:  global
        .offset:         8
        .size:           8
        .value_kind:     global_buffer
      - .offset:         16
        .size:           4
        .value_kind:     by_value
      - .actual_access:  read_only
        .address_space:  global
        .offset:         24
        .size:           8
        .value_kind:     global_buffer
      - .actual_access:  read_only
        .address_space:  global
        .offset:         32
        .size:           8
        .value_kind:     global_buffer
      - .offset:         40
        .size:           4
        .value_kind:     by_value
      - .offset:         44
        .size:           4
        .value_kind:     by_value
      - .offset:         48
        .size:           4
        .value_kind:     by_value
      - .offset:         56
        .size:           4
        .value_kind:     hidden_block_count_x
      - .offset:         60
        .size:           4
        .value_kind:     hidden_block_count_y
      - .offset:         64
        .size:           4
        .value_kind:     hidden_block_count_z
      - .offset:         68
        .size:           2
        .value_kind:     hidden_group_size_x
      - .offset:         70
        .size:           2
        .value_kind:     hidden_group_size_y
      - .offset:         72
        .size:           2
        .value_kind:     hidden_group_size_z
      - .offset:         74
        .size:           2
        .value_kind:     hidden_remainder_x
      - .offset:         76
        .size:           2
        .value_kind:     hidden_remainder_y
      - .offset:         78
        .size:           2
        .value_kind:     hidden_remainder_z
      - .offset:         96
        .size:           8
        .value_kind:     hidden_global_offset_x
      - .offset:         104
        .size:           8
        .value_kind:     hidden_global_offset_y
      - .offset:         112
        .size:           8
        .value_kind:     hidden_global_offset_z
      - .offset:         120
        .size:           2
        .value_kind:     hidden_grid_dims
    .group_segment_fixed_size: 68
    .kernarg_segment_align: 8
    .kernarg_segment_size: 312
    .language:       OpenCL C
    .language_version:
      - 2
      - 0
    .max_flat_workgroup_size: 1024
    .name:           _ZN4vllm32rms_norm_static_fp8_quant_kernelIN3c108BFloat16ENS1_13Float8_e4m3fnELi16EEEvPT0_PKT_iS8_PKffii
    .private_segment_fixed_size: 0
    .sgpr_count:     34
    .sgpr_spill_count: 0
    .symbol:         _ZN4vllm32rms_norm_static_fp8_quant_kernelIN3c108BFloat16ENS1_13Float8_e4m3fnELi16EEEvPT0_PKT_iS8_PKffii.kd
    .uniform_work_group_size: 1
    .uses_dynamic_stack: false
    .vgpr_count:     34
    .vgpr_spill_count: 0
    .wavefront_size: 64
  - .agpr_count:     0
    .args:
      - .actual_access:  write_only
        .address_space:  global
        .offset:         0
        .size:           8
        .value_kind:     global_buffer
      - .address_space:  global
        .offset:         8
        .size:           8
        .value_kind:     global_buffer
      - .offset:         16
        .size:           4
        .value_kind:     by_value
      - .actual_access:  read_only
        .address_space:  global
        .offset:         24
        .size:           8
        .value_kind:     global_buffer
      - .actual_access:  read_only
        .address_space:  global
        .offset:         32
        .size:           8
        .value_kind:     global_buffer
      - .offset:         40
        .size:           4
        .value_kind:     by_value
      - .offset:         44
        .size:           4
        .value_kind:     by_value
      - .offset:         48
        .size:           4
        .value_kind:     by_value
      - .offset:         56
        .size:           4
        .value_kind:     hidden_block_count_x
      - .offset:         60
        .size:           4
        .value_kind:     hidden_block_count_y
      - .offset:         64
        .size:           4
        .value_kind:     hidden_block_count_z
      - .offset:         68
        .size:           2
        .value_kind:     hidden_group_size_x
      - .offset:         70
        .size:           2
        .value_kind:     hidden_group_size_y
      - .offset:         72
        .size:           2
        .value_kind:     hidden_group_size_z
      - .offset:         74
        .size:           2
        .value_kind:     hidden_remainder_x
      - .offset:         76
        .size:           2
        .value_kind:     hidden_remainder_y
      - .offset:         78
        .size:           2
        .value_kind:     hidden_remainder_z
      - .offset:         96
        .size:           8
        .value_kind:     hidden_global_offset_x
      - .offset:         104
        .size:           8
        .value_kind:     hidden_global_offset_y
      - .offset:         112
        .size:           8
        .value_kind:     hidden_global_offset_z
      - .offset:         120
        .size:           2
        .value_kind:     hidden_grid_dims
    .group_segment_fixed_size: 68
    .kernarg_segment_align: 8
    .kernarg_segment_size: 312
    .language:       OpenCL C
    .language_version:
      - 2
      - 0
    .max_flat_workgroup_size: 1024
    .name:           _ZN4vllm32rms_norm_static_fp8_quant_kernelIN3c108BFloat16ENS1_13Float8_e4m3fnELi8EEEvPT0_PKT_iS8_PKffii
    .private_segment_fixed_size: 0
    .sgpr_count:     34
    .sgpr_spill_count: 0
    .symbol:         _ZN4vllm32rms_norm_static_fp8_quant_kernelIN3c108BFloat16ENS1_13Float8_e4m3fnELi8EEEvPT0_PKT_iS8_PKffii.kd
    .uniform_work_group_size: 1
    .uses_dynamic_stack: false
    .vgpr_count:     26
    .vgpr_spill_count: 0
    .wavefront_size: 64
  - .agpr_count:     0
    .args:
      - .actual_access:  write_only
        .address_space:  global
        .offset:         0
        .size:           8
        .value_kind:     global_buffer
      - .address_space:  global
        .offset:         8
        .size:           8
        .value_kind:     global_buffer
      - .offset:         16
        .size:           4
        .value_kind:     by_value
      - .actual_access:  read_only
        .address_space:  global
        .offset:         24
        .size:           8
        .value_kind:     global_buffer
      - .actual_access:  read_only
        .address_space:  global
        .offset:         32
        .size:           8
        .value_kind:     global_buffer
      - .offset:         40
        .size:           4
        .value_kind:     by_value
      - .offset:         44
        .size:           4
        .value_kind:     by_value
      - .offset:         48
        .size:           4
        .value_kind:     by_value
      - .offset:         56
        .size:           4
        .value_kind:     hidden_block_count_x
      - .offset:         60
        .size:           4
        .value_kind:     hidden_block_count_y
      - .offset:         64
        .size:           4
        .value_kind:     hidden_block_count_z
      - .offset:         68
        .size:           2
        .value_kind:     hidden_group_size_x
      - .offset:         70
        .size:           2
        .value_kind:     hidden_group_size_y
      - .offset:         72
        .size:           2
        .value_kind:     hidden_group_size_z
      - .offset:         74
        .size:           2
        .value_kind:     hidden_remainder_x
      - .offset:         76
        .size:           2
        .value_kind:     hidden_remainder_y
      - .offset:         78
        .size:           2
        .value_kind:     hidden_remainder_z
      - .offset:         96
        .size:           8
        .value_kind:     hidden_global_offset_x
      - .offset:         104
        .size:           8
        .value_kind:     hidden_global_offset_y
      - .offset:         112
        .size:           8
        .value_kind:     hidden_global_offset_z
      - .offset:         120
        .size:           2
        .value_kind:     hidden_grid_dims
    .group_segment_fixed_size: 68
    .kernarg_segment_align: 8
    .kernarg_segment_size: 312
    .language:       OpenCL C
    .language_version:
      - 2
      - 0
    .max_flat_workgroup_size: 1024
    .name:           _ZN4vllm32rms_norm_static_fp8_quant_kernelIN3c108BFloat16ENS1_13Float8_e4m3fnELi4EEEvPT0_PKT_iS8_PKffii
    .private_segment_fixed_size: 0
    .sgpr_count:     34
    .sgpr_spill_count: 0
    .symbol:         _ZN4vllm32rms_norm_static_fp8_quant_kernelIN3c108BFloat16ENS1_13Float8_e4m3fnELi4EEEvPT0_PKT_iS8_PKffii.kd
    .uniform_work_group_size: 1
    .uses_dynamic_stack: false
    .vgpr_count:     24
    .vgpr_spill_count: 0
    .wavefront_size: 64
  - .agpr_count:     0
    .args:
      - .actual_access:  write_only
        .address_space:  global
        .offset:         0
        .size:           8
        .value_kind:     global_buffer
      - .address_space:  global
        .offset:         8
        .size:           8
        .value_kind:     global_buffer
      - .offset:         16
        .size:           4
        .value_kind:     by_value
      - .actual_access:  read_only
        .address_space:  global
        .offset:         24
        .size:           8
        .value_kind:     global_buffer
      - .actual_access:  read_only
        .address_space:  global
        .offset:         32
        .size:           8
        .value_kind:     global_buffer
      - .offset:         40
        .size:           4
        .value_kind:     by_value
      - .offset:         44
        .size:           4
        .value_kind:     by_value
      - .offset:         48
        .size:           4
        .value_kind:     by_value
      - .offset:         56
        .size:           4
        .value_kind:     hidden_block_count_x
      - .offset:         60
        .size:           4
        .value_kind:     hidden_block_count_y
      - .offset:         64
        .size:           4
        .value_kind:     hidden_block_count_z
      - .offset:         68
        .size:           2
        .value_kind:     hidden_group_size_x
      - .offset:         70
        .size:           2
        .value_kind:     hidden_group_size_y
      - .offset:         72
        .size:           2
        .value_kind:     hidden_group_size_z
      - .offset:         74
        .size:           2
        .value_kind:     hidden_remainder_x
      - .offset:         76
        .size:           2
        .value_kind:     hidden_remainder_y
      - .offset:         78
        .size:           2
        .value_kind:     hidden_remainder_z
      - .offset:         96
        .size:           8
        .value_kind:     hidden_global_offset_x
      - .offset:         104
        .size:           8
        .value_kind:     hidden_global_offset_y
      - .offset:         112
        .size:           8
        .value_kind:     hidden_global_offset_z
      - .offset:         120
        .size:           2
        .value_kind:     hidden_grid_dims
    .group_segment_fixed_size: 68
    .kernarg_segment_align: 8
    .kernarg_segment_size: 312
    .language:       OpenCL C
    .language_version:
      - 2
      - 0
    .max_flat_workgroup_size: 1024
    .name:           _ZN4vllm32rms_norm_static_fp8_quant_kernelIN3c108BFloat16ENS1_13Float8_e4m3fnELi2EEEvPT0_PKT_iS8_PKffii
    .private_segment_fixed_size: 0
    .sgpr_count:     34
    .sgpr_spill_count: 0
    .symbol:         _ZN4vllm32rms_norm_static_fp8_quant_kernelIN3c108BFloat16ENS1_13Float8_e4m3fnELi2EEEvPT0_PKT_iS8_PKffii.kd
    .uniform_work_group_size: 1
    .uses_dynamic_stack: false
    .vgpr_count:     22
    .vgpr_spill_count: 0
    .wavefront_size: 64
  - .agpr_count:     0
    .args:
      - .actual_access:  write_only
        .address_space:  global
        .offset:         0
        .size:           8
        .value_kind:     global_buffer
      - .address_space:  global
        .offset:         8
        .size:           8
        .value_kind:     global_buffer
      - .offset:         16
        .size:           4
        .value_kind:     by_value
      - .actual_access:  read_only
        .address_space:  global
        .offset:         24
        .size:           8
        .value_kind:     global_buffer
      - .actual_access:  read_only
        .address_space:  global
        .offset:         32
        .size:           8
        .value_kind:     global_buffer
      - .offset:         40
        .size:           4
        .value_kind:     by_value
      - .offset:         44
        .size:           4
        .value_kind:     by_value
      - .offset:         48
        .size:           4
        .value_kind:     by_value
      - .offset:         56
        .size:           4
        .value_kind:     hidden_block_count_x
      - .offset:         60
        .size:           4
        .value_kind:     hidden_block_count_y
      - .offset:         64
        .size:           4
        .value_kind:     hidden_block_count_z
      - .offset:         68
        .size:           2
        .value_kind:     hidden_group_size_x
      - .offset:         70
        .size:           2
        .value_kind:     hidden_group_size_y
      - .offset:         72
        .size:           2
        .value_kind:     hidden_group_size_z
      - .offset:         74
        .size:           2
        .value_kind:     hidden_remainder_x
      - .offset:         76
        .size:           2
        .value_kind:     hidden_remainder_y
      - .offset:         78
        .size:           2
        .value_kind:     hidden_remainder_z
      - .offset:         96
        .size:           8
        .value_kind:     hidden_global_offset_x
      - .offset:         104
        .size:           8
        .value_kind:     hidden_global_offset_y
      - .offset:         112
        .size:           8
        .value_kind:     hidden_global_offset_z
      - .offset:         120
        .size:           2
        .value_kind:     hidden_grid_dims
    .group_segment_fixed_size: 68
    .kernarg_segment_align: 8
    .kernarg_segment_size: 312
    .language:       OpenCL C
    .language_version:
      - 2
      - 0
    .max_flat_workgroup_size: 1024
    .name:           _ZN4vllm32rms_norm_static_fp8_quant_kernelIN3c108BFloat16ENS1_13Float8_e4m3fnELi1EEEvPT0_PKT_iS8_PKffii
    .private_segment_fixed_size: 0
    .sgpr_count:     32
    .sgpr_spill_count: 0
    .symbol:         _ZN4vllm32rms_norm_static_fp8_quant_kernelIN3c108BFloat16ENS1_13Float8_e4m3fnELi1EEEvPT0_PKT_iS8_PKffii.kd
    .uniform_work_group_size: 1
    .uses_dynamic_stack: false
    .vgpr_count:     18
    .vgpr_spill_count: 0
    .wavefront_size: 64
  - .agpr_count:     0
    .args:
      - .actual_access:  write_only
        .address_space:  global
        .offset:         0
        .size:           8
        .value_kind:     global_buffer
      - .address_space:  global
        .offset:         8
        .size:           8
        .value_kind:     global_buffer
      - .offset:         16
        .size:           4
        .value_kind:     by_value
      - .actual_access:  read_only
        .address_space:  global
        .offset:         24
        .size:           8
        .value_kind:     global_buffer
      - .actual_access:  read_only
        .address_space:  global
        .offset:         32
        .size:           8
        .value_kind:     global_buffer
      - .offset:         40
        .size:           4
        .value_kind:     by_value
      - .offset:         44
        .size:           4
        .value_kind:     by_value
      - .offset:         48
        .size:           4
        .value_kind:     by_value
      - .offset:         56
        .size:           4
        .value_kind:     hidden_block_count_x
      - .offset:         60
        .size:           4
        .value_kind:     hidden_block_count_y
      - .offset:         64
        .size:           4
        .value_kind:     hidden_block_count_z
      - .offset:         68
        .size:           2
        .value_kind:     hidden_group_size_x
      - .offset:         70
        .size:           2
        .value_kind:     hidden_group_size_y
      - .offset:         72
        .size:           2
        .value_kind:     hidden_group_size_z
      - .offset:         74
        .size:           2
        .value_kind:     hidden_remainder_x
      - .offset:         76
        .size:           2
        .value_kind:     hidden_remainder_y
      - .offset:         78
        .size:           2
        .value_kind:     hidden_remainder_z
      - .offset:         96
        .size:           8
        .value_kind:     hidden_global_offset_x
      - .offset:         104
        .size:           8
        .value_kind:     hidden_global_offset_y
      - .offset:         112
        .size:           8
        .value_kind:     hidden_global_offset_z
      - .offset:         120
        .size:           2
        .value_kind:     hidden_grid_dims
    .group_segment_fixed_size: 68
    .kernarg_segment_align: 8
    .kernarg_segment_size: 312
    .language:       OpenCL C
    .language_version:
      - 2
      - 0
    .max_flat_workgroup_size: 1024
    .name:           _ZN4vllm32rms_norm_static_fp8_quant_kernelIN3c108BFloat16ENS1_15Float8_e4m3fnuzELi16EEEvPT0_PKT_iS8_PKffii
    .private_segment_fixed_size: 0
    .sgpr_count:     32
    .sgpr_spill_count: 0
    .symbol:         _ZN4vllm32rms_norm_static_fp8_quant_kernelIN3c108BFloat16ENS1_15Float8_e4m3fnuzELi16EEEvPT0_PKT_iS8_PKffii.kd
    .uniform_work_group_size: 1
    .uses_dynamic_stack: false
    .vgpr_count:     34
    .vgpr_spill_count: 0
    .wavefront_size: 64
  - .agpr_count:     0
    .args:
      - .actual_access:  write_only
        .address_space:  global
        .offset:         0
        .size:           8
        .value_kind:     global_buffer
      - .address_space:  global
        .offset:         8
        .size:           8
        .value_kind:     global_buffer
      - .offset:         16
        .size:           4
        .value_kind:     by_value
      - .actual_access:  read_only
        .address_space:  global
        .offset:         24
        .size:           8
        .value_kind:     global_buffer
      - .actual_access:  read_only
        .address_space:  global
        .offset:         32
        .size:           8
        .value_kind:     global_buffer
      - .offset:         40
        .size:           4
        .value_kind:     by_value
      - .offset:         44
        .size:           4
        .value_kind:     by_value
      - .offset:         48
        .size:           4
        .value_kind:     by_value
      - .offset:         56
        .size:           4
        .value_kind:     hidden_block_count_x
      - .offset:         60
        .size:           4
        .value_kind:     hidden_block_count_y
      - .offset:         64
        .size:           4
        .value_kind:     hidden_block_count_z
      - .offset:         68
        .size:           2
        .value_kind:     hidden_group_size_x
      - .offset:         70
        .size:           2
        .value_kind:     hidden_group_size_y
      - .offset:         72
        .size:           2
        .value_kind:     hidden_group_size_z
      - .offset:         74
        .size:           2
        .value_kind:     hidden_remainder_x
      - .offset:         76
        .size:           2
        .value_kind:     hidden_remainder_y
      - .offset:         78
        .size:           2
        .value_kind:     hidden_remainder_z
      - .offset:         96
        .size:           8
        .value_kind:     hidden_global_offset_x
      - .offset:         104
        .size:           8
        .value_kind:     hidden_global_offset_y
      - .offset:         112
        .size:           8
        .value_kind:     hidden_global_offset_z
      - .offset:         120
        .size:           2
        .value_kind:     hidden_grid_dims
    .group_segment_fixed_size: 68
    .kernarg_segment_align: 8
    .kernarg_segment_size: 312
    .language:       OpenCL C
    .language_version:
      - 2
      - 0
    .max_flat_workgroup_size: 1024
    .name:           _ZN4vllm32rms_norm_static_fp8_quant_kernelIN3c108BFloat16ENS1_15Float8_e4m3fnuzELi8EEEvPT0_PKT_iS8_PKffii
    .private_segment_fixed_size: 0
    .sgpr_count:     32
    .sgpr_spill_count: 0
    .symbol:         _ZN4vllm32rms_norm_static_fp8_quant_kernelIN3c108BFloat16ENS1_15Float8_e4m3fnuzELi8EEEvPT0_PKT_iS8_PKffii.kd
    .uniform_work_group_size: 1
    .uses_dynamic_stack: false
    .vgpr_count:     26
    .vgpr_spill_count: 0
    .wavefront_size: 64
  - .agpr_count:     0
    .args:
      - .actual_access:  write_only
        .address_space:  global
        .offset:         0
        .size:           8
        .value_kind:     global_buffer
      - .address_space:  global
        .offset:         8
        .size:           8
        .value_kind:     global_buffer
      - .offset:         16
        .size:           4
        .value_kind:     by_value
      - .actual_access:  read_only
        .address_space:  global
        .offset:         24
        .size:           8
        .value_kind:     global_buffer
      - .actual_access:  read_only
        .address_space:  global
        .offset:         32
        .size:           8
        .value_kind:     global_buffer
      - .offset:         40
        .size:           4
        .value_kind:     by_value
      - .offset:         44
        .size:           4
        .value_kind:     by_value
      - .offset:         48
        .size:           4
        .value_kind:     by_value
      - .offset:         56
        .size:           4
        .value_kind:     hidden_block_count_x
      - .offset:         60
        .size:           4
        .value_kind:     hidden_block_count_y
      - .offset:         64
        .size:           4
        .value_kind:     hidden_block_count_z
      - .offset:         68
        .size:           2
        .value_kind:     hidden_group_size_x
      - .offset:         70
        .size:           2
        .value_kind:     hidden_group_size_y
      - .offset:         72
        .size:           2
        .value_kind:     hidden_group_size_z
      - .offset:         74
        .size:           2
        .value_kind:     hidden_remainder_x
      - .offset:         76
        .size:           2
        .value_kind:     hidden_remainder_y
      - .offset:         78
        .size:           2
        .value_kind:     hidden_remainder_z
      - .offset:         96
        .size:           8
        .value_kind:     hidden_global_offset_x
      - .offset:         104
        .size:           8
        .value_kind:     hidden_global_offset_y
      - .offset:         112
        .size:           8
        .value_kind:     hidden_global_offset_z
      - .offset:         120
        .size:           2
        .value_kind:     hidden_grid_dims
    .group_segment_fixed_size: 68
    .kernarg_segment_align: 8
    .kernarg_segment_size: 312
    .language:       OpenCL C
    .language_version:
      - 2
      - 0
    .max_flat_workgroup_size: 1024
    .name:           _ZN4vllm32rms_norm_static_fp8_quant_kernelIN3c108BFloat16ENS1_15Float8_e4m3fnuzELi4EEEvPT0_PKT_iS8_PKffii
    .private_segment_fixed_size: 0
    .sgpr_count:     31
    .sgpr_spill_count: 0
    .symbol:         _ZN4vllm32rms_norm_static_fp8_quant_kernelIN3c108BFloat16ENS1_15Float8_e4m3fnuzELi4EEEvPT0_PKT_iS8_PKffii.kd
    .uniform_work_group_size: 1
    .uses_dynamic_stack: false
    .vgpr_count:     24
    .vgpr_spill_count: 0
    .wavefront_size: 64
  - .agpr_count:     0
    .args:
      - .actual_access:  write_only
        .address_space:  global
        .offset:         0
        .size:           8
        .value_kind:     global_buffer
      - .address_space:  global
        .offset:         8
        .size:           8
        .value_kind:     global_buffer
      - .offset:         16
        .size:           4
        .value_kind:     by_value
      - .actual_access:  read_only
        .address_space:  global
        .offset:         24
        .size:           8
        .value_kind:     global_buffer
      - .actual_access:  read_only
        .address_space:  global
        .offset:         32
        .size:           8
        .value_kind:     global_buffer
      - .offset:         40
        .size:           4
        .value_kind:     by_value
      - .offset:         44
        .size:           4
        .value_kind:     by_value
      - .offset:         48
        .size:           4
        .value_kind:     by_value
      - .offset:         56
        .size:           4
        .value_kind:     hidden_block_count_x
      - .offset:         60
        .size:           4
        .value_kind:     hidden_block_count_y
      - .offset:         64
        .size:           4
        .value_kind:     hidden_block_count_z
      - .offset:         68
        .size:           2
        .value_kind:     hidden_group_size_x
      - .offset:         70
        .size:           2
        .value_kind:     hidden_group_size_y
      - .offset:         72
        .size:           2
        .value_kind:     hidden_group_size_z
      - .offset:         74
        .size:           2
        .value_kind:     hidden_remainder_x
      - .offset:         76
        .size:           2
        .value_kind:     hidden_remainder_y
      - .offset:         78
        .size:           2
        .value_kind:     hidden_remainder_z
      - .offset:         96
        .size:           8
        .value_kind:     hidden_global_offset_x
      - .offset:         104
        .size:           8
        .value_kind:     hidden_global_offset_y
      - .offset:         112
        .size:           8
        .value_kind:     hidden_global_offset_z
      - .offset:         120
        .size:           2
        .value_kind:     hidden_grid_dims
    .group_segment_fixed_size: 68
    .kernarg_segment_align: 8
    .kernarg_segment_size: 312
    .language:       OpenCL C
    .language_version:
      - 2
      - 0
    .max_flat_workgroup_size: 1024
    .name:           _ZN4vllm32rms_norm_static_fp8_quant_kernelIN3c108BFloat16ENS1_15Float8_e4m3fnuzELi2EEEvPT0_PKT_iS8_PKffii
    .private_segment_fixed_size: 0
    .sgpr_count:     31
    .sgpr_spill_count: 0
    .symbol:         _ZN4vllm32rms_norm_static_fp8_quant_kernelIN3c108BFloat16ENS1_15Float8_e4m3fnuzELi2EEEvPT0_PKT_iS8_PKffii.kd
    .uniform_work_group_size: 1
    .uses_dynamic_stack: false
    .vgpr_count:     22
    .vgpr_spill_count: 0
    .wavefront_size: 64
  - .agpr_count:     0
    .args:
      - .actual_access:  write_only
        .address_space:  global
        .offset:         0
        .size:           8
        .value_kind:     global_buffer
      - .address_space:  global
        .offset:         8
        .size:           8
        .value_kind:     global_buffer
      - .offset:         16
        .size:           4
        .value_kind:     by_value
      - .actual_access:  read_only
        .address_space:  global
        .offset:         24
        .size:           8
        .value_kind:     global_buffer
      - .actual_access:  read_only
        .address_space:  global
        .offset:         32
        .size:           8
        .value_kind:     global_buffer
      - .offset:         40
        .size:           4
        .value_kind:     by_value
      - .offset:         44
        .size:           4
        .value_kind:     by_value
      - .offset:         48
        .size:           4
        .value_kind:     by_value
      - .offset:         56
        .size:           4
        .value_kind:     hidden_block_count_x
      - .offset:         60
        .size:           4
        .value_kind:     hidden_block_count_y
      - .offset:         64
        .size:           4
        .value_kind:     hidden_block_count_z
      - .offset:         68
        .size:           2
        .value_kind:     hidden_group_size_x
      - .offset:         70
        .size:           2
        .value_kind:     hidden_group_size_y
      - .offset:         72
        .size:           2
        .value_kind:     hidden_group_size_z
      - .offset:         74
        .size:           2
        .value_kind:     hidden_remainder_x
      - .offset:         76
        .size:           2
        .value_kind:     hidden_remainder_y
      - .offset:         78
        .size:           2
        .value_kind:     hidden_remainder_z
      - .offset:         96
        .size:           8
        .value_kind:     hidden_global_offset_x
      - .offset:         104
        .size:           8
        .value_kind:     hidden_global_offset_y
      - .offset:         112
        .size:           8
        .value_kind:     hidden_global_offset_z
      - .offset:         120
        .size:           2
        .value_kind:     hidden_grid_dims
    .group_segment_fixed_size: 68
    .kernarg_segment_align: 8
    .kernarg_segment_size: 312
    .language:       OpenCL C
    .language_version:
      - 2
      - 0
    .max_flat_workgroup_size: 1024
    .name:           _ZN4vllm32rms_norm_static_fp8_quant_kernelIN3c108BFloat16ENS1_15Float8_e4m3fnuzELi1EEEvPT0_PKT_iS8_PKffii
    .private_segment_fixed_size: 0
    .sgpr_count:     29
    .sgpr_spill_count: 0
    .symbol:         _ZN4vllm32rms_norm_static_fp8_quant_kernelIN3c108BFloat16ENS1_15Float8_e4m3fnuzELi1EEEvPT0_PKT_iS8_PKffii.kd
    .uniform_work_group_size: 1
    .uses_dynamic_stack: false
    .vgpr_count:     18
    .vgpr_spill_count: 0
    .wavefront_size: 64
  - .agpr_count:     0
    .args:
      - .actual_access:  write_only
        .address_space:  global
        .offset:         0
        .size:           8
        .value_kind:     global_buffer
      - .actual_access:  read_only
        .address_space:  global
        .offset:         8
        .size:           8
        .value_kind:     global_buffer
      - .offset:         16
        .size:           4
        .value_kind:     by_value
      - .address_space:  global
        .offset:         24
        .size:           8
        .value_kind:     global_buffer
      - .actual_access:  read_only
        .address_space:  global
        .offset:         32
        .size:           8
        .value_kind:     global_buffer
      - .actual_access:  read_only
        .address_space:  global
        .offset:         40
        .size:           8
        .value_kind:     global_buffer
      - .offset:         48
        .size:           4
        .value_kind:     by_value
      - .offset:         52
        .size:           4
        .value_kind:     by_value
      - .offset:         56
        .size:           4
        .value_kind:     by_value
      - .offset:         64
        .size:           4
        .value_kind:     hidden_block_count_x
      - .offset:         68
        .size:           4
        .value_kind:     hidden_block_count_y
      - .offset:         72
        .size:           4
        .value_kind:     hidden_block_count_z
      - .offset:         76
        .size:           2
        .value_kind:     hidden_group_size_x
      - .offset:         78
        .size:           2
        .value_kind:     hidden_group_size_y
      - .offset:         80
        .size:           2
        .value_kind:     hidden_group_size_z
      - .offset:         82
        .size:           2
        .value_kind:     hidden_remainder_x
      - .offset:         84
        .size:           2
        .value_kind:     hidden_remainder_y
      - .offset:         86
        .size:           2
        .value_kind:     hidden_remainder_z
      - .offset:         104
        .size:           8
        .value_kind:     hidden_global_offset_x
      - .offset:         112
        .size:           8
        .value_kind:     hidden_global_offset_y
      - .offset:         120
        .size:           8
        .value_kind:     hidden_global_offset_z
      - .offset:         128
        .size:           2
        .value_kind:     hidden_grid_dims
    .group_segment_fixed_size: 68
    .kernarg_segment_align: 8
    .kernarg_segment_size: 320
    .language:       OpenCL C
    .language_version:
      - 2
      - 0
    .max_flat_workgroup_size: 1024
    .name:           _ZN4vllm42fused_add_rms_norm_static_fp8_quant_kernelIfLi8EN3c1013Float8_e4m3fnEEENSt9enable_ifIXaagtT0_Li0Esr12_typeConvertIT_EE6existsEvE4typeEPT1_PS4_iS9_PKS4_PKffii
    .private_segment_fixed_size: 0
    .sgpr_count:     29
    .sgpr_spill_count: 0
    .symbol:         _ZN4vllm42fused_add_rms_norm_static_fp8_quant_kernelIfLi8EN3c1013Float8_e4m3fnEEENSt9enable_ifIXaagtT0_Li0Esr12_typeConvertIT_EE6existsEvE4typeEPT1_PS4_iS9_PKS4_PKffii.kd
    .uniform_work_group_size: 1
    .uses_dynamic_stack: false
    .vgpr_count:     37
    .vgpr_spill_count: 0
    .wavefront_size: 64
  - .agpr_count:     0
    .args:
      - .actual_access:  write_only
        .address_space:  global
        .offset:         0
        .size:           8
        .value_kind:     global_buffer
      - .actual_access:  read_only
        .address_space:  global
        .offset:         8
        .size:           8
        .value_kind:     global_buffer
      - .offset:         16
        .size:           4
        .value_kind:     by_value
      - .address_space:  global
        .offset:         24
        .size:           8
        .value_kind:     global_buffer
      - .actual_access:  read_only
        .address_space:  global
        .offset:         32
        .size:           8
        .value_kind:     global_buffer
      - .actual_access:  read_only
        .address_space:  global
        .offset:         40
        .size:           8
        .value_kind:     global_buffer
      - .offset:         48
        .size:           4
        .value_kind:     by_value
      - .offset:         52
        .size:           4
        .value_kind:     by_value
      - .offset:         56
        .size:           4
        .value_kind:     by_value
      - .offset:         64
        .size:           4
        .value_kind:     hidden_block_count_x
      - .offset:         68
        .size:           4
        .value_kind:     hidden_block_count_y
      - .offset:         72
        .size:           4
        .value_kind:     hidden_block_count_z
      - .offset:         76
        .size:           2
        .value_kind:     hidden_group_size_x
      - .offset:         78
        .size:           2
        .value_kind:     hidden_group_size_y
      - .offset:         80
        .size:           2
        .value_kind:     hidden_group_size_z
      - .offset:         82
        .size:           2
        .value_kind:     hidden_remainder_x
      - .offset:         84
        .size:           2
        .value_kind:     hidden_remainder_y
      - .offset:         86
        .size:           2
        .value_kind:     hidden_remainder_z
      - .offset:         104
        .size:           8
        .value_kind:     hidden_global_offset_x
      - .offset:         112
        .size:           8
        .value_kind:     hidden_global_offset_y
      - .offset:         120
        .size:           8
        .value_kind:     hidden_global_offset_z
      - .offset:         128
        .size:           2
        .value_kind:     hidden_grid_dims
    .group_segment_fixed_size: 68
    .kernarg_segment_align: 8
    .kernarg_segment_size: 320
    .language:       OpenCL C
    .language_version:
      - 2
      - 0
    .max_flat_workgroup_size: 1024
    .name:           _ZN4vllm42fused_add_rms_norm_static_fp8_quant_kernelIfLi8EN3c1015Float8_e4m3fnuzEEENSt9enable_ifIXaagtT0_Li0Esr12_typeConvertIT_EE6existsEvE4typeEPT1_PS4_iS9_PKS4_PKffii
    .private_segment_fixed_size: 0
    .sgpr_count:     29
    .sgpr_spill_count: 0
    .symbol:         _ZN4vllm42fused_add_rms_norm_static_fp8_quant_kernelIfLi8EN3c1015Float8_e4m3fnuzEEENSt9enable_ifIXaagtT0_Li0Esr12_typeConvertIT_EE6existsEvE4typeEPT1_PS4_iS9_PKS4_PKffii.kd
    .uniform_work_group_size: 1
    .uses_dynamic_stack: false
    .vgpr_count:     37
    .vgpr_spill_count: 0
    .wavefront_size: 64
  - .agpr_count:     0
    .args:
      - .actual_access:  write_only
        .address_space:  global
        .offset:         0
        .size:           8
        .value_kind:     global_buffer
      - .actual_access:  read_only
        .address_space:  global
        .offset:         8
        .size:           8
        .value_kind:     global_buffer
      - .offset:         16
        .size:           4
        .value_kind:     by_value
      - .address_space:  global
        .offset:         24
        .size:           8
        .value_kind:     global_buffer
      - .actual_access:  read_only
        .address_space:  global
        .offset:         32
        .size:           8
        .value_kind:     global_buffer
      - .actual_access:  read_only
        .address_space:  global
        .offset:         40
        .size:           8
        .value_kind:     global_buffer
      - .offset:         48
        .size:           4
        .value_kind:     by_value
      - .offset:         52
        .size:           4
        .value_kind:     by_value
      - .offset:         56
        .size:           4
        .value_kind:     by_value
      - .offset:         64
        .size:           4
        .value_kind:     hidden_block_count_x
      - .offset:         68
        .size:           4
        .value_kind:     hidden_block_count_y
      - .offset:         72
        .size:           4
        .value_kind:     hidden_block_count_z
      - .offset:         76
        .size:           2
        .value_kind:     hidden_group_size_x
      - .offset:         78
        .size:           2
        .value_kind:     hidden_group_size_y
      - .offset:         80
        .size:           2
        .value_kind:     hidden_group_size_z
      - .offset:         82
        .size:           2
        .value_kind:     hidden_remainder_x
      - .offset:         84
        .size:           2
        .value_kind:     hidden_remainder_y
      - .offset:         86
        .size:           2
        .value_kind:     hidden_remainder_z
      - .offset:         104
        .size:           8
        .value_kind:     hidden_global_offset_x
      - .offset:         112
        .size:           8
        .value_kind:     hidden_global_offset_y
      - .offset:         120
        .size:           8
        .value_kind:     hidden_global_offset_z
      - .offset:         128
        .size:           2
        .value_kind:     hidden_grid_dims
    .group_segment_fixed_size: 68
    .kernarg_segment_align: 8
    .kernarg_segment_size: 320
    .language:       OpenCL C
    .language_version:
      - 2
      - 0
    .max_flat_workgroup_size: 1024
    .name:           _ZN4vllm42fused_add_rms_norm_static_fp8_quant_kernelIN3c104HalfELi8ENS1_13Float8_e4m3fnEEENSt9enable_ifIXaagtT0_Li0Esr12_typeConvertIT_EE6existsEvE4typeEPT1_PS5_iSA_PKS5_PKffii
    .private_segment_fixed_size: 0
    .sgpr_count:     29
    .sgpr_spill_count: 0
    .symbol:         _ZN4vllm42fused_add_rms_norm_static_fp8_quant_kernelIN3c104HalfELi8ENS1_13Float8_e4m3fnEEENSt9enable_ifIXaagtT0_Li0Esr12_typeConvertIT_EE6existsEvE4typeEPT1_PS5_iSA_PKS5_PKffii.kd
    .uniform_work_group_size: 1
    .uses_dynamic_stack: false
    .vgpr_count:     31
    .vgpr_spill_count: 0
    .wavefront_size: 64
  - .agpr_count:     0
    .args:
      - .actual_access:  write_only
        .address_space:  global
        .offset:         0
        .size:           8
        .value_kind:     global_buffer
      - .actual_access:  read_only
        .address_space:  global
        .offset:         8
        .size:           8
        .value_kind:     global_buffer
      - .offset:         16
        .size:           4
        .value_kind:     by_value
      - .address_space:  global
        .offset:         24
        .size:           8
        .value_kind:     global_buffer
      - .actual_access:  read_only
        .address_space:  global
        .offset:         32
        .size:           8
        .value_kind:     global_buffer
      - .actual_access:  read_only
        .address_space:  global
        .offset:         40
        .size:           8
        .value_kind:     global_buffer
      - .offset:         48
        .size:           4
        .value_kind:     by_value
      - .offset:         52
        .size:           4
        .value_kind:     by_value
      - .offset:         56
        .size:           4
        .value_kind:     by_value
      - .offset:         64
        .size:           4
        .value_kind:     hidden_block_count_x
      - .offset:         68
        .size:           4
        .value_kind:     hidden_block_count_y
      - .offset:         72
        .size:           4
        .value_kind:     hidden_block_count_z
      - .offset:         76
        .size:           2
        .value_kind:     hidden_group_size_x
      - .offset:         78
        .size:           2
        .value_kind:     hidden_group_size_y
      - .offset:         80
        .size:           2
        .value_kind:     hidden_group_size_z
      - .offset:         82
        .size:           2
        .value_kind:     hidden_remainder_x
      - .offset:         84
        .size:           2
        .value_kind:     hidden_remainder_y
      - .offset:         86
        .size:           2
        .value_kind:     hidden_remainder_z
      - .offset:         104
        .size:           8
        .value_kind:     hidden_global_offset_x
      - .offset:         112
        .size:           8
        .value_kind:     hidden_global_offset_y
      - .offset:         120
        .size:           8
        .value_kind:     hidden_global_offset_z
      - .offset:         128
        .size:           2
        .value_kind:     hidden_grid_dims
    .group_segment_fixed_size: 68
    .kernarg_segment_align: 8
    .kernarg_segment_size: 320
    .language:       OpenCL C
    .language_version:
      - 2
      - 0
    .max_flat_workgroup_size: 1024
    .name:           _ZN4vllm42fused_add_rms_norm_static_fp8_quant_kernelIN3c104HalfELi8ENS1_15Float8_e4m3fnuzEEENSt9enable_ifIXaagtT0_Li0Esr12_typeConvertIT_EE6existsEvE4typeEPT1_PS5_iSA_PKS5_PKffii
    .private_segment_fixed_size: 0
    .sgpr_count:     29
    .sgpr_spill_count: 0
    .symbol:         _ZN4vllm42fused_add_rms_norm_static_fp8_quant_kernelIN3c104HalfELi8ENS1_15Float8_e4m3fnuzEEENSt9enable_ifIXaagtT0_Li0Esr12_typeConvertIT_EE6existsEvE4typeEPT1_PS5_iSA_PKS5_PKffii.kd
    .uniform_work_group_size: 1
    .uses_dynamic_stack: false
    .vgpr_count:     31
    .vgpr_spill_count: 0
    .wavefront_size: 64
  - .agpr_count:     0
    .args:
      - .actual_access:  write_only
        .address_space:  global
        .offset:         0
        .size:           8
        .value_kind:     global_buffer
      - .actual_access:  read_only
        .address_space:  global
        .offset:         8
        .size:           8
        .value_kind:     global_buffer
      - .offset:         16
        .size:           4
        .value_kind:     by_value
      - .address_space:  global
        .offset:         24
        .size:           8
        .value_kind:     global_buffer
      - .actual_access:  read_only
        .address_space:  global
        .offset:         32
        .size:           8
        .value_kind:     global_buffer
      - .actual_access:  read_only
        .address_space:  global
        .offset:         40
        .size:           8
        .value_kind:     global_buffer
      - .offset:         48
        .size:           4
        .value_kind:     by_value
      - .offset:         52
        .size:           4
        .value_kind:     by_value
      - .offset:         56
        .size:           4
        .value_kind:     by_value
      - .offset:         64
        .size:           4
        .value_kind:     hidden_block_count_x
      - .offset:         68
        .size:           4
        .value_kind:     hidden_block_count_y
      - .offset:         72
        .size:           4
        .value_kind:     hidden_block_count_z
      - .offset:         76
        .size:           2
        .value_kind:     hidden_group_size_x
      - .offset:         78
        .size:           2
        .value_kind:     hidden_group_size_y
      - .offset:         80
        .size:           2
        .value_kind:     hidden_group_size_z
      - .offset:         82
        .size:           2
        .value_kind:     hidden_remainder_x
      - .offset:         84
        .size:           2
        .value_kind:     hidden_remainder_y
      - .offset:         86
        .size:           2
        .value_kind:     hidden_remainder_z
      - .offset:         104
        .size:           8
        .value_kind:     hidden_global_offset_x
      - .offset:         112
        .size:           8
        .value_kind:     hidden_global_offset_y
      - .offset:         120
        .size:           8
        .value_kind:     hidden_global_offset_z
      - .offset:         128
        .size:           2
        .value_kind:     hidden_grid_dims
    .group_segment_fixed_size: 68
    .kernarg_segment_align: 8
    .kernarg_segment_size: 320
    .language:       OpenCL C
    .language_version:
      - 2
      - 0
    .max_flat_workgroup_size: 1024
    .name:           _ZN4vllm42fused_add_rms_norm_static_fp8_quant_kernelIN3c108BFloat16ELi8ENS1_13Float8_e4m3fnEEENSt9enable_ifIXaagtT0_Li0Esr12_typeConvertIT_EE6existsEvE4typeEPT1_PS5_iSA_PKS5_PKffii
    .private_segment_fixed_size: 0
    .sgpr_count:     31
    .sgpr_spill_count: 0
    .symbol:         _ZN4vllm42fused_add_rms_norm_static_fp8_quant_kernelIN3c108BFloat16ELi8ENS1_13Float8_e4m3fnEEENSt9enable_ifIXaagtT0_Li0Esr12_typeConvertIT_EE6existsEvE4typeEPT1_PS5_iSA_PKS5_PKffii.kd
    .uniform_work_group_size: 1
    .uses_dynamic_stack: false
    .vgpr_count:     31
    .vgpr_spill_count: 0
    .wavefront_size: 64
  - .agpr_count:     0
    .args:
      - .actual_access:  write_only
        .address_space:  global
        .offset:         0
        .size:           8
        .value_kind:     global_buffer
      - .actual_access:  read_only
        .address_space:  global
        .offset:         8
        .size:           8
        .value_kind:     global_buffer
      - .offset:         16
        .size:           4
        .value_kind:     by_value
      - .address_space:  global
        .offset:         24
        .size:           8
        .value_kind:     global_buffer
      - .actual_access:  read_only
        .address_space:  global
        .offset:         32
        .size:           8
        .value_kind:     global_buffer
      - .actual_access:  read_only
        .address_space:  global
        .offset:         40
        .size:           8
        .value_kind:     global_buffer
      - .offset:         48
        .size:           4
        .value_kind:     by_value
      - .offset:         52
        .size:           4
        .value_kind:     by_value
      - .offset:         56
        .size:           4
        .value_kind:     by_value
      - .offset:         64
        .size:           4
        .value_kind:     hidden_block_count_x
      - .offset:         68
        .size:           4
        .value_kind:     hidden_block_count_y
      - .offset:         72
        .size:           4
        .value_kind:     hidden_block_count_z
      - .offset:         76
        .size:           2
        .value_kind:     hidden_group_size_x
      - .offset:         78
        .size:           2
        .value_kind:     hidden_group_size_y
      - .offset:         80
        .size:           2
        .value_kind:     hidden_group_size_z
      - .offset:         82
        .size:           2
        .value_kind:     hidden_remainder_x
      - .offset:         84
        .size:           2
        .value_kind:     hidden_remainder_y
      - .offset:         86
        .size:           2
        .value_kind:     hidden_remainder_z
      - .offset:         104
        .size:           8
        .value_kind:     hidden_global_offset_x
      - .offset:         112
        .size:           8
        .value_kind:     hidden_global_offset_y
      - .offset:         120
        .size:           8
        .value_kind:     hidden_global_offset_z
      - .offset:         128
        .size:           2
        .value_kind:     hidden_grid_dims
    .group_segment_fixed_size: 68
    .kernarg_segment_align: 8
    .kernarg_segment_size: 320
    .language:       OpenCL C
    .language_version:
      - 2
      - 0
    .max_flat_workgroup_size: 1024
    .name:           _ZN4vllm42fused_add_rms_norm_static_fp8_quant_kernelIN3c108BFloat16ELi8ENS1_15Float8_e4m3fnuzEEENSt9enable_ifIXaagtT0_Li0Esr12_typeConvertIT_EE6existsEvE4typeEPT1_PS5_iSA_PKS5_PKffii
    .private_segment_fixed_size: 0
    .sgpr_count:     31
    .sgpr_spill_count: 0
    .symbol:         _ZN4vllm42fused_add_rms_norm_static_fp8_quant_kernelIN3c108BFloat16ELi8ENS1_15Float8_e4m3fnuzEEENSt9enable_ifIXaagtT0_Li0Esr12_typeConvertIT_EE6existsEvE4typeEPT1_PS5_iSA_PKS5_PKffii.kd
    .uniform_work_group_size: 1
    .uses_dynamic_stack: false
    .vgpr_count:     31
    .vgpr_spill_count: 0
    .wavefront_size: 64
  - .agpr_count:     0
    .args:
      - .actual_access:  write_only
        .address_space:  global
        .offset:         0
        .size:           8
        .value_kind:     global_buffer
      - .actual_access:  read_only
        .address_space:  global
        .offset:         8
        .size:           8
        .value_kind:     global_buffer
      - .offset:         16
        .size:           4
        .value_kind:     by_value
      - .address_space:  global
        .offset:         24
        .size:           8
        .value_kind:     global_buffer
      - .actual_access:  read_only
        .address_space:  global
        .offset:         32
        .size:           8
        .value_kind:     global_buffer
      - .actual_access:  read_only
        .address_space:  global
        .offset:         40
        .size:           8
        .value_kind:     global_buffer
      - .offset:         48
        .size:           4
        .value_kind:     by_value
      - .offset:         52
        .size:           4
        .value_kind:     by_value
      - .offset:         56
        .size:           4
        .value_kind:     by_value
      - .offset:         64
        .size:           4
        .value_kind:     hidden_block_count_x
      - .offset:         68
        .size:           4
        .value_kind:     hidden_block_count_y
      - .offset:         72
        .size:           4
        .value_kind:     hidden_block_count_z
      - .offset:         76
        .size:           2
        .value_kind:     hidden_group_size_x
      - .offset:         78
        .size:           2
        .value_kind:     hidden_group_size_y
      - .offset:         80
        .size:           2
        .value_kind:     hidden_group_size_z
      - .offset:         82
        .size:           2
        .value_kind:     hidden_remainder_x
      - .offset:         84
        .size:           2
        .value_kind:     hidden_remainder_y
      - .offset:         86
        .size:           2
        .value_kind:     hidden_remainder_z
      - .offset:         104
        .size:           8
        .value_kind:     hidden_global_offset_x
      - .offset:         112
        .size:           8
        .value_kind:     hidden_global_offset_y
      - .offset:         120
        .size:           8
        .value_kind:     hidden_global_offset_z
      - .offset:         128
        .size:           2
        .value_kind:     hidden_grid_dims
    .group_segment_fixed_size: 68
    .kernarg_segment_align: 8
    .kernarg_segment_size: 320
    .language:       OpenCL C
    .language_version:
      - 2
      - 0
    .max_flat_workgroup_size: 1024
    .name:           _ZN4vllm42fused_add_rms_norm_static_fp8_quant_kernelIfLi0EN3c1013Float8_e4m3fnEEENSt9enable_ifIXooeqT0_Li0Entsr12_typeConvertIT_EE6existsEvE4typeEPT1_PS4_iS9_PKS4_PKffii
    .private_segment_fixed_size: 0
    .sgpr_count:     30
    .sgpr_spill_count: 0
    .symbol:         _ZN4vllm42fused_add_rms_norm_static_fp8_quant_kernelIfLi0EN3c1013Float8_e4m3fnEEENSt9enable_ifIXooeqT0_Li0Entsr12_typeConvertIT_EE6existsEvE4typeEPT1_PS4_iS9_PKS4_PKffii.kd
    .uniform_work_group_size: 1
    .uses_dynamic_stack: false
    .vgpr_count:     19
    .vgpr_spill_count: 0
    .wavefront_size: 64
  - .agpr_count:     0
    .args:
      - .actual_access:  write_only
        .address_space:  global
        .offset:         0
        .size:           8
        .value_kind:     global_buffer
      - .actual_access:  read_only
        .address_space:  global
        .offset:         8
        .size:           8
        .value_kind:     global_buffer
      - .offset:         16
        .size:           4
        .value_kind:     by_value
      - .address_space:  global
        .offset:         24
        .size:           8
        .value_kind:     global_buffer
      - .actual_access:  read_only
        .address_space:  global
        .offset:         32
        .size:           8
        .value_kind:     global_buffer
      - .actual_access:  read_only
        .address_space:  global
        .offset:         40
        .size:           8
        .value_kind:     global_buffer
      - .offset:         48
        .size:           4
        .value_kind:     by_value
      - .offset:         52
        .size:           4
        .value_kind:     by_value
      - .offset:         56
        .size:           4
        .value_kind:     by_value
      - .offset:         64
        .size:           4
        .value_kind:     hidden_block_count_x
      - .offset:         68
        .size:           4
        .value_kind:     hidden_block_count_y
      - .offset:         72
        .size:           4
        .value_kind:     hidden_block_count_z
      - .offset:         76
        .size:           2
        .value_kind:     hidden_group_size_x
      - .offset:         78
        .size:           2
        .value_kind:     hidden_group_size_y
      - .offset:         80
        .size:           2
        .value_kind:     hidden_group_size_z
      - .offset:         82
        .size:           2
        .value_kind:     hidden_remainder_x
      - .offset:         84
        .size:           2
        .value_kind:     hidden_remainder_y
      - .offset:         86
        .size:           2
        .value_kind:     hidden_remainder_z
      - .offset:         104
        .size:           8
        .value_kind:     hidden_global_offset_x
      - .offset:         112
        .size:           8
        .value_kind:     hidden_global_offset_y
      - .offset:         120
        .size:           8
        .value_kind:     hidden_global_offset_z
      - .offset:         128
        .size:           2
        .value_kind:     hidden_grid_dims
    .group_segment_fixed_size: 68
    .kernarg_segment_align: 8
    .kernarg_segment_size: 320
    .language:       OpenCL C
    .language_version:
      - 2
      - 0
    .max_flat_workgroup_size: 1024
    .name:           _ZN4vllm42fused_add_rms_norm_static_fp8_quant_kernelIfLi0EN3c1015Float8_e4m3fnuzEEENSt9enable_ifIXooeqT0_Li0Entsr12_typeConvertIT_EE6existsEvE4typeEPT1_PS4_iS9_PKS4_PKffii
    .private_segment_fixed_size: 0
    .sgpr_count:     27
    .sgpr_spill_count: 0
    .symbol:         _ZN4vllm42fused_add_rms_norm_static_fp8_quant_kernelIfLi0EN3c1015Float8_e4m3fnuzEEENSt9enable_ifIXooeqT0_Li0Entsr12_typeConvertIT_EE6existsEvE4typeEPT1_PS4_iS9_PKS4_PKffii.kd
    .uniform_work_group_size: 1
    .uses_dynamic_stack: false
    .vgpr_count:     20
    .vgpr_spill_count: 0
    .wavefront_size: 64
  - .agpr_count:     0
    .args:
      - .actual_access:  write_only
        .address_space:  global
        .offset:         0
        .size:           8
        .value_kind:     global_buffer
      - .actual_access:  read_only
        .address_space:  global
        .offset:         8
        .size:           8
        .value_kind:     global_buffer
      - .offset:         16
        .size:           4
        .value_kind:     by_value
      - .address_space:  global
        .offset:         24
        .size:           8
        .value_kind:     global_buffer
      - .actual_access:  read_only
        .address_space:  global
        .offset:         32
        .size:           8
        .value_kind:     global_buffer
      - .actual_access:  read_only
        .address_space:  global
        .offset:         40
        .size:           8
        .value_kind:     global_buffer
      - .offset:         48
        .size:           4
        .value_kind:     by_value
      - .offset:         52
        .size:           4
        .value_kind:     by_value
      - .offset:         56
        .size:           4
        .value_kind:     by_value
      - .offset:         64
        .size:           4
        .value_kind:     hidden_block_count_x
      - .offset:         68
        .size:           4
        .value_kind:     hidden_block_count_y
      - .offset:         72
        .size:           4
        .value_kind:     hidden_block_count_z
      - .offset:         76
        .size:           2
        .value_kind:     hidden_group_size_x
      - .offset:         78
        .size:           2
        .value_kind:     hidden_group_size_y
      - .offset:         80
        .size:           2
        .value_kind:     hidden_group_size_z
      - .offset:         82
        .size:           2
        .value_kind:     hidden_remainder_x
      - .offset:         84
        .size:           2
        .value_kind:     hidden_remainder_y
      - .offset:         86
        .size:           2
        .value_kind:     hidden_remainder_z
      - .offset:         104
        .size:           8
        .value_kind:     hidden_global_offset_x
      - .offset:         112
        .size:           8
        .value_kind:     hidden_global_offset_y
      - .offset:         120
        .size:           8
        .value_kind:     hidden_global_offset_z
      - .offset:         128
        .size:           2
        .value_kind:     hidden_grid_dims
    .group_segment_fixed_size: 68
    .kernarg_segment_align: 8
    .kernarg_segment_size: 320
    .language:       OpenCL C
    .language_version:
      - 2
      - 0
    .max_flat_workgroup_size: 1024
    .name:           _ZN4vllm42fused_add_rms_norm_static_fp8_quant_kernelIN3c104HalfELi0ENS1_13Float8_e4m3fnEEENSt9enable_ifIXooeqT0_Li0Entsr12_typeConvertIT_EE6existsEvE4typeEPT1_PS5_iSA_PKS5_PKffii
    .private_segment_fixed_size: 0
    .sgpr_count:     30
    .sgpr_spill_count: 0
    .symbol:         _ZN4vllm42fused_add_rms_norm_static_fp8_quant_kernelIN3c104HalfELi0ENS1_13Float8_e4m3fnEEENSt9enable_ifIXooeqT0_Li0Entsr12_typeConvertIT_EE6existsEvE4typeEPT1_PS5_iSA_PKS5_PKffii.kd
    .uniform_work_group_size: 1
    .uses_dynamic_stack: false
    .vgpr_count:     19
    .vgpr_spill_count: 0
    .wavefront_size: 64
  - .agpr_count:     0
    .args:
      - .actual_access:  write_only
        .address_space:  global
        .offset:         0
        .size:           8
        .value_kind:     global_buffer
      - .actual_access:  read_only
        .address_space:  global
        .offset:         8
        .size:           8
        .value_kind:     global_buffer
      - .offset:         16
        .size:           4
        .value_kind:     by_value
      - .address_space:  global
        .offset:         24
        .size:           8
        .value_kind:     global_buffer
      - .actual_access:  read_only
        .address_space:  global
        .offset:         32
        .size:           8
        .value_kind:     global_buffer
      - .actual_access:  read_only
        .address_space:  global
        .offset:         40
        .size:           8
        .value_kind:     global_buffer
      - .offset:         48
        .size:           4
        .value_kind:     by_value
      - .offset:         52
        .size:           4
        .value_kind:     by_value
      - .offset:         56
        .size:           4
        .value_kind:     by_value
      - .offset:         64
        .size:           4
        .value_kind:     hidden_block_count_x
      - .offset:         68
        .size:           4
        .value_kind:     hidden_block_count_y
      - .offset:         72
        .size:           4
        .value_kind:     hidden_block_count_z
      - .offset:         76
        .size:           2
        .value_kind:     hidden_group_size_x
      - .offset:         78
        .size:           2
        .value_kind:     hidden_group_size_y
      - .offset:         80
        .size:           2
        .value_kind:     hidden_group_size_z
      - .offset:         82
        .size:           2
        .value_kind:     hidden_remainder_x
      - .offset:         84
        .size:           2
        .value_kind:     hidden_remainder_y
      - .offset:         86
        .size:           2
        .value_kind:     hidden_remainder_z
      - .offset:         104
        .size:           8
        .value_kind:     hidden_global_offset_x
      - .offset:         112
        .size:           8
        .value_kind:     hidden_global_offset_y
      - .offset:         120
        .size:           8
        .value_kind:     hidden_global_offset_z
      - .offset:         128
        .size:           2
        .value_kind:     hidden_grid_dims
    .group_segment_fixed_size: 68
    .kernarg_segment_align: 8
    .kernarg_segment_size: 320
    .language:       OpenCL C
    .language_version:
      - 2
      - 0
    .max_flat_workgroup_size: 1024
    .name:           _ZN4vllm42fused_add_rms_norm_static_fp8_quant_kernelIN3c104HalfELi0ENS1_15Float8_e4m3fnuzEEENSt9enable_ifIXooeqT0_Li0Entsr12_typeConvertIT_EE6existsEvE4typeEPT1_PS5_iSA_PKS5_PKffii
    .private_segment_fixed_size: 0
    .sgpr_count:     27
    .sgpr_spill_count: 0
    .symbol:         _ZN4vllm42fused_add_rms_norm_static_fp8_quant_kernelIN3c104HalfELi0ENS1_15Float8_e4m3fnuzEEENSt9enable_ifIXooeqT0_Li0Entsr12_typeConvertIT_EE6existsEvE4typeEPT1_PS5_iSA_PKS5_PKffii.kd
    .uniform_work_group_size: 1
    .uses_dynamic_stack: false
    .vgpr_count:     20
    .vgpr_spill_count: 0
    .wavefront_size: 64
  - .agpr_count:     0
    .args:
      - .actual_access:  write_only
        .address_space:  global
        .offset:         0
        .size:           8
        .value_kind:     global_buffer
      - .actual_access:  read_only
        .address_space:  global
        .offset:         8
        .size:           8
        .value_kind:     global_buffer
      - .offset:         16
        .size:           4
        .value_kind:     by_value
      - .address_space:  global
        .offset:         24
        .size:           8
        .value_kind:     global_buffer
      - .actual_access:  read_only
        .address_space:  global
        .offset:         32
        .size:           8
        .value_kind:     global_buffer
      - .actual_access:  read_only
        .address_space:  global
        .offset:         40
        .size:           8
        .value_kind:     global_buffer
      - .offset:         48
        .size:           4
        .value_kind:     by_value
      - .offset:         52
        .size:           4
        .value_kind:     by_value
      - .offset:         56
        .size:           4
        .value_kind:     by_value
      - .offset:         64
        .size:           4
        .value_kind:     hidden_block_count_x
      - .offset:         68
        .size:           4
        .value_kind:     hidden_block_count_y
      - .offset:         72
        .size:           4
        .value_kind:     hidden_block_count_z
      - .offset:         76
        .size:           2
        .value_kind:     hidden_group_size_x
      - .offset:         78
        .size:           2
        .value_kind:     hidden_group_size_y
      - .offset:         80
        .size:           2
        .value_kind:     hidden_group_size_z
      - .offset:         82
        .size:           2
        .value_kind:     hidden_remainder_x
      - .offset:         84
        .size:           2
        .value_kind:     hidden_remainder_y
      - .offset:         86
        .size:           2
        .value_kind:     hidden_remainder_z
      - .offset:         104
        .size:           8
        .value_kind:     hidden_global_offset_x
      - .offset:         112
        .size:           8
        .value_kind:     hidden_global_offset_y
      - .offset:         120
        .size:           8
        .value_kind:     hidden_global_offset_z
      - .offset:         128
        .size:           2
        .value_kind:     hidden_grid_dims
    .group_segment_fixed_size: 68
    .kernarg_segment_align: 8
    .kernarg_segment_size: 320
    .language:       OpenCL C
    .language_version:
      - 2
      - 0
    .max_flat_workgroup_size: 1024
    .name:           _ZN4vllm42fused_add_rms_norm_static_fp8_quant_kernelIN3c108BFloat16ELi0ENS1_13Float8_e4m3fnEEENSt9enable_ifIXooeqT0_Li0Entsr12_typeConvertIT_EE6existsEvE4typeEPT1_PS5_iSA_PKS5_PKffii
    .private_segment_fixed_size: 0
    .sgpr_count:     30
    .sgpr_spill_count: 0
    .symbol:         _ZN4vllm42fused_add_rms_norm_static_fp8_quant_kernelIN3c108BFloat16ELi0ENS1_13Float8_e4m3fnEEENSt9enable_ifIXooeqT0_Li0Entsr12_typeConvertIT_EE6existsEvE4typeEPT1_PS5_iSA_PKS5_PKffii.kd
    .uniform_work_group_size: 1
    .uses_dynamic_stack: false
    .vgpr_count:     20
    .vgpr_spill_count: 0
    .wavefront_size: 64
  - .agpr_count:     0
    .args:
      - .actual_access:  write_only
        .address_space:  global
        .offset:         0
        .size:           8
        .value_kind:     global_buffer
      - .actual_access:  read_only
        .address_space:  global
        .offset:         8
        .size:           8
        .value_kind:     global_buffer
      - .offset:         16
        .size:           4
        .value_kind:     by_value
      - .address_space:  global
        .offset:         24
        .size:           8
        .value_kind:     global_buffer
      - .actual_access:  read_only
        .address_space:  global
        .offset:         32
        .size:           8
        .value_kind:     global_buffer
      - .actual_access:  read_only
        .address_space:  global
        .offset:         40
        .size:           8
        .value_kind:     global_buffer
      - .offset:         48
        .size:           4
        .value_kind:     by_value
      - .offset:         52
        .size:           4
        .value_kind:     by_value
      - .offset:         56
        .size:           4
        .value_kind:     by_value
      - .offset:         64
        .size:           4
        .value_kind:     hidden_block_count_x
      - .offset:         68
        .size:           4
        .value_kind:     hidden_block_count_y
      - .offset:         72
        .size:           4
        .value_kind:     hidden_block_count_z
      - .offset:         76
        .size:           2
        .value_kind:     hidden_group_size_x
      - .offset:         78
        .size:           2
        .value_kind:     hidden_group_size_y
      - .offset:         80
        .size:           2
        .value_kind:     hidden_group_size_z
      - .offset:         82
        .size:           2
        .value_kind:     hidden_remainder_x
      - .offset:         84
        .size:           2
        .value_kind:     hidden_remainder_y
      - .offset:         86
        .size:           2
        .value_kind:     hidden_remainder_z
      - .offset:         104
        .size:           8
        .value_kind:     hidden_global_offset_x
      - .offset:         112
        .size:           8
        .value_kind:     hidden_global_offset_y
      - .offset:         120
        .size:           8
        .value_kind:     hidden_global_offset_z
      - .offset:         128
        .size:           2
        .value_kind:     hidden_grid_dims
    .group_segment_fixed_size: 68
    .kernarg_segment_align: 8
    .kernarg_segment_size: 320
    .language:       OpenCL C
    .language_version:
      - 2
      - 0
    .max_flat_workgroup_size: 1024
    .name:           _ZN4vllm42fused_add_rms_norm_static_fp8_quant_kernelIN3c108BFloat16ELi0ENS1_15Float8_e4m3fnuzEEENSt9enable_ifIXooeqT0_Li0Entsr12_typeConvertIT_EE6existsEvE4typeEPT1_PS5_iSA_PKS5_PKffii
    .private_segment_fixed_size: 0
    .sgpr_count:     28
    .sgpr_spill_count: 0
    .symbol:         _ZN4vllm42fused_add_rms_norm_static_fp8_quant_kernelIN3c108BFloat16ELi0ENS1_15Float8_e4m3fnuzEEENSt9enable_ifIXooeqT0_Li0Entsr12_typeConvertIT_EE6existsEvE4typeEPT1_PS5_iSA_PKS5_PKffii.kd
    .uniform_work_group_size: 1
    .uses_dynamic_stack: false
    .vgpr_count:     20
    .vgpr_spill_count: 0
    .wavefront_size: 64
amdhsa.target:   amdgcn-amd-amdhsa--gfx90a
amdhsa.version:
  - 1
  - 2
...

	.end_amdgpu_metadata
